;; amdgpu-corpus repo=ROCm/rocFFT kind=compiled arch=gfx906 opt=O3
	.text
	.amdgcn_target "amdgcn-amd-amdhsa--gfx906"
	.amdhsa_code_object_version 6
	.protected	fft_rtc_fwd_len1170_factors_2_13_3_5_3_wgs_117_tpt_117_half_op_CI_CI_unitstride_sbrr_R2C_dirReg ; -- Begin function fft_rtc_fwd_len1170_factors_2_13_3_5_3_wgs_117_tpt_117_half_op_CI_CI_unitstride_sbrr_R2C_dirReg
	.globl	fft_rtc_fwd_len1170_factors_2_13_3_5_3_wgs_117_tpt_117_half_op_CI_CI_unitstride_sbrr_R2C_dirReg
	.p2align	8
	.type	fft_rtc_fwd_len1170_factors_2_13_3_5_3_wgs_117_tpt_117_half_op_CI_CI_unitstride_sbrr_R2C_dirReg,@function
fft_rtc_fwd_len1170_factors_2_13_3_5_3_wgs_117_tpt_117_half_op_CI_CI_unitstride_sbrr_R2C_dirReg: ; @fft_rtc_fwd_len1170_factors_2_13_3_5_3_wgs_117_tpt_117_half_op_CI_CI_unitstride_sbrr_R2C_dirReg
; %bb.0:
	s_load_dwordx4 s[8:11], s[4:5], 0x58
	s_load_dwordx4 s[12:15], s[4:5], 0x0
	;; [unrolled: 1-line block ×3, first 2 shown]
	v_mul_u32_u24_e32 v1, 0x231, v0
	v_mov_b32_e32 v5, 0
	v_mov_b32_e32 v12, 0
	s_waitcnt lgkmcnt(0)
	v_cmp_lt_u64_e64 s[0:1], s[14:15], 2
	v_add_u32_sdwa v7, s6, v1 dst_sel:DWORD dst_unused:UNUSED_PAD src0_sel:DWORD src1_sel:WORD_1
	v_mov_b32_e32 v8, v5
	s_and_b64 vcc, exec, s[0:1]
	v_mov_b32_e32 v13, 0
	s_cbranch_vccnz .LBB0_8
; %bb.1:
	s_load_dwordx2 s[0:1], s[4:5], 0x10
	s_add_u32 s2, s18, 8
	s_addc_u32 s3, s19, 0
	s_add_u32 s6, s16, 8
	s_addc_u32 s7, s17, 0
	v_mov_b32_e32 v12, 0
	s_waitcnt lgkmcnt(0)
	s_add_u32 s20, s0, 8
	v_mov_b32_e32 v13, 0
	v_mov_b32_e32 v1, v12
	s_addc_u32 s21, s1, 0
	s_mov_b64 s[22:23], 1
	v_mov_b32_e32 v2, v13
.LBB0_2:                                ; =>This Inner Loop Header: Depth=1
	s_load_dwordx2 s[24:25], s[20:21], 0x0
                                        ; implicit-def: $vgpr3_vgpr4
	s_waitcnt lgkmcnt(0)
	v_or_b32_e32 v6, s25, v8
	v_cmp_ne_u64_e32 vcc, 0, v[5:6]
	s_and_saveexec_b64 s[0:1], vcc
	s_xor_b64 s[26:27], exec, s[0:1]
	s_cbranch_execz .LBB0_4
; %bb.3:                                ;   in Loop: Header=BB0_2 Depth=1
	v_cvt_f32_u32_e32 v3, s24
	v_cvt_f32_u32_e32 v4, s25
	s_sub_u32 s0, 0, s24
	s_subb_u32 s1, 0, s25
	v_mac_f32_e32 v3, 0x4f800000, v4
	v_rcp_f32_e32 v3, v3
	v_mul_f32_e32 v3, 0x5f7ffffc, v3
	v_mul_f32_e32 v4, 0x2f800000, v3
	v_trunc_f32_e32 v4, v4
	v_mac_f32_e32 v3, 0xcf800000, v4
	v_cvt_u32_f32_e32 v4, v4
	v_cvt_u32_f32_e32 v3, v3
	v_mul_lo_u32 v6, s0, v4
	v_mul_hi_u32 v9, s0, v3
	v_mul_lo_u32 v11, s1, v3
	v_mul_lo_u32 v10, s0, v3
	v_add_u32_e32 v6, v9, v6
	v_add_u32_e32 v6, v6, v11
	v_mul_hi_u32 v9, v3, v10
	v_mul_lo_u32 v11, v3, v6
	v_mul_hi_u32 v15, v3, v6
	v_mul_hi_u32 v14, v4, v10
	v_mul_lo_u32 v10, v4, v10
	v_mul_hi_u32 v16, v4, v6
	v_add_co_u32_e32 v9, vcc, v9, v11
	v_addc_co_u32_e32 v11, vcc, 0, v15, vcc
	v_mul_lo_u32 v6, v4, v6
	v_add_co_u32_e32 v9, vcc, v9, v10
	v_addc_co_u32_e32 v9, vcc, v11, v14, vcc
	v_addc_co_u32_e32 v10, vcc, 0, v16, vcc
	v_add_co_u32_e32 v6, vcc, v9, v6
	v_addc_co_u32_e32 v9, vcc, 0, v10, vcc
	v_add_co_u32_e32 v3, vcc, v3, v6
	v_addc_co_u32_e32 v4, vcc, v4, v9, vcc
	v_mul_lo_u32 v6, s0, v4
	v_mul_hi_u32 v9, s0, v3
	v_mul_lo_u32 v10, s1, v3
	v_mul_lo_u32 v11, s0, v3
	v_add_u32_e32 v6, v9, v6
	v_add_u32_e32 v6, v6, v10
	v_mul_lo_u32 v14, v3, v6
	v_mul_hi_u32 v15, v3, v11
	v_mul_hi_u32 v16, v3, v6
	v_mul_hi_u32 v10, v4, v11
	v_mul_lo_u32 v11, v4, v11
	v_mul_hi_u32 v9, v4, v6
	v_add_co_u32_e32 v14, vcc, v15, v14
	v_addc_co_u32_e32 v15, vcc, 0, v16, vcc
	v_mul_lo_u32 v6, v4, v6
	v_add_co_u32_e32 v11, vcc, v14, v11
	v_addc_co_u32_e32 v10, vcc, v15, v10, vcc
	v_addc_co_u32_e32 v9, vcc, 0, v9, vcc
	v_add_co_u32_e32 v6, vcc, v10, v6
	v_addc_co_u32_e32 v9, vcc, 0, v9, vcc
	v_add_co_u32_e32 v6, vcc, v3, v6
	v_addc_co_u32_e32 v9, vcc, v4, v9, vcc
	v_mad_u64_u32 v[3:4], s[0:1], v7, v9, 0
	v_mul_hi_u32 v10, v7, v6
	v_add_co_u32_e32 v11, vcc, v10, v3
	v_addc_co_u32_e32 v14, vcc, 0, v4, vcc
	v_mad_u64_u32 v[3:4], s[0:1], v8, v6, 0
	v_mad_u64_u32 v[9:10], s[0:1], v8, v9, 0
	v_add_co_u32_e32 v3, vcc, v11, v3
	v_addc_co_u32_e32 v3, vcc, v14, v4, vcc
	v_addc_co_u32_e32 v4, vcc, 0, v10, vcc
	v_add_co_u32_e32 v6, vcc, v3, v9
	v_addc_co_u32_e32 v9, vcc, 0, v4, vcc
	v_mul_lo_u32 v10, s25, v6
	v_mul_lo_u32 v11, s24, v9
	v_mad_u64_u32 v[3:4], s[0:1], s24, v6, 0
	v_add3_u32 v4, v4, v11, v10
	v_sub_u32_e32 v10, v8, v4
	v_mov_b32_e32 v11, s25
	v_sub_co_u32_e32 v3, vcc, v7, v3
	v_subb_co_u32_e64 v10, s[0:1], v10, v11, vcc
	v_subrev_co_u32_e64 v11, s[0:1], s24, v3
	v_subbrev_co_u32_e64 v10, s[0:1], 0, v10, s[0:1]
	v_cmp_le_u32_e64 s[0:1], s25, v10
	v_cndmask_b32_e64 v14, 0, -1, s[0:1]
	v_cmp_le_u32_e64 s[0:1], s24, v11
	v_cndmask_b32_e64 v11, 0, -1, s[0:1]
	v_cmp_eq_u32_e64 s[0:1], s25, v10
	v_cndmask_b32_e64 v10, v14, v11, s[0:1]
	v_add_co_u32_e64 v11, s[0:1], 2, v6
	v_addc_co_u32_e64 v14, s[0:1], 0, v9, s[0:1]
	v_add_co_u32_e64 v15, s[0:1], 1, v6
	v_addc_co_u32_e64 v16, s[0:1], 0, v9, s[0:1]
	v_subb_co_u32_e32 v4, vcc, v8, v4, vcc
	v_cmp_ne_u32_e64 s[0:1], 0, v10
	v_cmp_le_u32_e32 vcc, s25, v4
	v_cndmask_b32_e64 v10, v16, v14, s[0:1]
	v_cndmask_b32_e64 v14, 0, -1, vcc
	v_cmp_le_u32_e32 vcc, s24, v3
	v_cndmask_b32_e64 v3, 0, -1, vcc
	v_cmp_eq_u32_e32 vcc, s25, v4
	v_cndmask_b32_e32 v3, v14, v3, vcc
	v_cmp_ne_u32_e32 vcc, 0, v3
	v_cndmask_b32_e64 v3, v15, v11, s[0:1]
	v_cndmask_b32_e32 v4, v9, v10, vcc
	v_cndmask_b32_e32 v3, v6, v3, vcc
.LBB0_4:                                ;   in Loop: Header=BB0_2 Depth=1
	s_andn2_saveexec_b64 s[0:1], s[26:27]
	s_cbranch_execz .LBB0_6
; %bb.5:                                ;   in Loop: Header=BB0_2 Depth=1
	v_cvt_f32_u32_e32 v3, s24
	s_sub_i32 s26, 0, s24
	v_rcp_iflag_f32_e32 v3, v3
	v_mul_f32_e32 v3, 0x4f7ffffe, v3
	v_cvt_u32_f32_e32 v3, v3
	v_mul_lo_u32 v4, s26, v3
	v_mul_hi_u32 v4, v3, v4
	v_add_u32_e32 v3, v3, v4
	v_mul_hi_u32 v3, v7, v3
	v_mul_lo_u32 v4, v3, s24
	v_add_u32_e32 v6, 1, v3
	v_sub_u32_e32 v4, v7, v4
	v_subrev_u32_e32 v9, s24, v4
	v_cmp_le_u32_e32 vcc, s24, v4
	v_cndmask_b32_e32 v4, v4, v9, vcc
	v_cndmask_b32_e32 v3, v3, v6, vcc
	v_add_u32_e32 v6, 1, v3
	v_cmp_le_u32_e32 vcc, s24, v4
	v_cndmask_b32_e32 v3, v3, v6, vcc
	v_mov_b32_e32 v4, v5
.LBB0_6:                                ;   in Loop: Header=BB0_2 Depth=1
	s_or_b64 exec, exec, s[0:1]
	v_mul_lo_u32 v6, v4, s24
	v_mul_lo_u32 v11, v3, s25
	v_mad_u64_u32 v[9:10], s[0:1], v3, s24, 0
	s_load_dwordx2 s[0:1], s[6:7], 0x0
	s_load_dwordx2 s[24:25], s[2:3], 0x0
	v_add3_u32 v6, v10, v11, v6
	v_sub_co_u32_e32 v7, vcc, v7, v9
	v_subb_co_u32_e32 v6, vcc, v8, v6, vcc
	s_waitcnt lgkmcnt(0)
	v_mul_lo_u32 v8, s0, v6
	v_mul_lo_u32 v9, s1, v7
	v_mad_u64_u32 v[12:13], s[0:1], s0, v7, v[12:13]
	v_mul_lo_u32 v6, s24, v6
	v_mul_lo_u32 v10, s25, v7
	v_mad_u64_u32 v[1:2], s[0:1], s24, v7, v[1:2]
	s_add_u32 s22, s22, 1
	s_addc_u32 s23, s23, 0
	s_add_u32 s2, s2, 8
	v_add3_u32 v2, v10, v2, v6
	s_addc_u32 s3, s3, 0
	v_mov_b32_e32 v6, s14
	s_add_u32 s6, s6, 8
	v_mov_b32_e32 v7, s15
	s_addc_u32 s7, s7, 0
	v_cmp_ge_u64_e32 vcc, s[22:23], v[6:7]
	s_add_u32 s20, s20, 8
	v_add3_u32 v13, v9, v13, v8
	s_addc_u32 s21, s21, 0
	s_cbranch_vccnz .LBB0_9
; %bb.7:                                ;   in Loop: Header=BB0_2 Depth=1
	v_mov_b32_e32 v8, v4
	v_mov_b32_e32 v7, v3
	s_branch .LBB0_2
.LBB0_8:
	v_mov_b32_e32 v1, v12
	v_mov_b32_e32 v3, v7
	;; [unrolled: 1-line block ×4, first 2 shown]
.LBB0_9:
	s_load_dwordx2 s[4:5], s[4:5], 0x28
	s_lshl_b64 s[6:7], s[14:15], 3
	s_add_u32 s2, s18, s6
	s_addc_u32 s3, s19, s7
                                        ; implicit-def: $vgpr5
                                        ; implicit-def: $vgpr7
                                        ; implicit-def: $vgpr11
                                        ; implicit-def: $vgpr10
                                        ; implicit-def: $vgpr9
	s_waitcnt lgkmcnt(0)
	v_cmp_gt_u64_e64 s[0:1], s[4:5], v[3:4]
	v_cmp_le_u64_e32 vcc, s[4:5], v[3:4]
	s_and_saveexec_b64 s[4:5], vcc
	s_xor_b64 s[4:5], exec, s[4:5]
; %bb.10:
	s_mov_b32 s14, 0x2302303
	v_mul_hi_u32 v5, v0, s14
                                        ; implicit-def: $vgpr12_vgpr13
	v_mul_u32_u24_e32 v5, 0x75, v5
	v_sub_u32_e32 v5, v0, v5
	v_add_u32_e32 v7, 0x75, v5
	v_add_u32_e32 v11, 0xea, v5
	;; [unrolled: 1-line block ×4, first 2 shown]
                                        ; implicit-def: $vgpr0
; %bb.11:
	s_andn2_saveexec_b64 s[4:5], s[4:5]
	s_cbranch_execz .LBB0_13
; %bb.12:
	s_add_u32 s6, s16, s6
	s_addc_u32 s7, s17, s7
	s_load_dwordx2 s[6:7], s[6:7], 0x0
	s_mov_b32 s14, 0x2302303
	v_mul_hi_u32 v5, v0, s14
	s_waitcnt lgkmcnt(0)
	v_mul_lo_u32 v8, s7, v3
	v_mul_lo_u32 v9, s6, v4
	v_mad_u64_u32 v[6:7], s[6:7], s6, v3, 0
	v_mul_u32_u24_e32 v5, 0x75, v5
	v_sub_u32_e32 v5, v0, v5
	v_add3_u32 v7, v7, v9, v8
	v_lshlrev_b64 v[6:7], 2, v[6:7]
	v_mov_b32_e32 v0, s9
	v_add_co_u32_e32 v8, vcc, s8, v6
	v_addc_co_u32_e32 v0, vcc, v0, v7, vcc
	v_lshlrev_b64 v[6:7], 2, v[12:13]
	v_lshlrev_b32_e32 v12, 2, v5
	v_add_co_u32_e32 v6, vcc, v8, v6
	v_addc_co_u32_e32 v0, vcc, v0, v7, vcc
	v_add_co_u32_e32 v6, vcc, v6, v12
	v_addc_co_u32_e32 v7, vcc, 0, v0, vcc
	global_load_dword v0, v[6:7], off
	global_load_dword v13, v[6:7], off offset:468
	global_load_dword v14, v[6:7], off offset:936
	;; [unrolled: 1-line block ×7, first 2 shown]
	v_add_co_u32_e32 v8, vcc, 0x1000, v6
	v_addc_co_u32_e32 v9, vcc, 0, v7, vcc
	global_load_dword v20, v[6:7], off offset:3744
	global_load_dword v21, v[8:9], off offset:116
	v_add_u32_e32 v6, 0, v12
	v_add_u32_e32 v7, 0x75, v5
	;; [unrolled: 1-line block ×8, first 2 shown]
	s_waitcnt vmcnt(8)
	ds_write2_b32 v6, v0, v13 offset1:117
	s_waitcnt vmcnt(6)
	ds_write2_b32 v8, v14, v15 offset0:106 offset1:223
	s_waitcnt vmcnt(4)
	ds_write2_b32 v12, v16, v17 offset0:84 offset1:201
	;; [unrolled: 2-line block ×3, first 2 shown]
	v_add_u32_e32 v0, 0xe00, v6
	s_waitcnt vmcnt(0)
	ds_write2_b32 v0, v20, v21 offset0:40 offset1:157
.LBB0_13:
	s_or_b64 exec, exec, s[4:5]
	v_lshlrev_b32_e32 v6, 2, v5
	v_add_u32_e32 v0, 0, v6
	v_add_u32_e32 v8, 0x600, v0
	s_load_dwordx2 s[4:5], s[2:3], 0x0
	s_waitcnt lgkmcnt(0)
	s_barrier
	ds_read2_b32 v[15:16], v0 offset1:117
	ds_read2_b32 v[17:18], v8 offset0:84 offset1:201
	v_add_u32_e32 v8, 0xe00, v0
	v_add_u32_e32 v22, 0x200, v0
	ds_read2_b32 v[23:24], v22 offset0:106 offset1:223
	v_lshl_add_u32 v27, v10, 3, 0
	s_waitcnt lgkmcnt(1)
	v_pk_add_f16 v13, v15, v18 neg_lo:[0,1] neg_hi:[0,1]
	v_pk_fma_f16 v12, v15, 2.0, v13 op_sel_hi:[1,0,1] neg_lo:[0,0,1] neg_hi:[0,0,1]
	ds_read2_b32 v[14:15], v8 offset0:40 offset1:157
	v_add_u32_e32 v8, 0xa00, v0
	ds_read2_b32 v[25:26], v8 offset0:62 offset1:179
	s_movk_i32 s2, 0x5a
	s_waitcnt lgkmcnt(0)
	v_pk_add_f16 v19, v17, v15 neg_lo:[0,1] neg_hi:[0,1]
	v_pk_fma_f16 v18, v17, 2.0, v19 op_sel_hi:[1,0,1] neg_lo:[0,0,1] neg_hi:[0,0,1]
	v_pk_add_f16 v21, v24, v14 neg_lo:[0,1] neg_hi:[0,1]
	v_pk_add_f16 v15, v23, v26 neg_lo:[0,1] neg_hi:[0,1]
	;; [unrolled: 1-line block ×3, first 2 shown]
	v_pk_fma_f16 v20, v24, 2.0, v21 op_sel_hi:[1,0,1] neg_lo:[0,0,1] neg_hi:[0,0,1]
	v_pk_fma_f16 v14, v23, 2.0, v15 op_sel_hi:[1,0,1] neg_lo:[0,0,1] neg_hi:[0,0,1]
	v_add_u32_e32 v23, v0, v6
	v_lshl_add_u32 v24, v7, 3, 0
	v_pk_fma_f16 v16, v16, 2.0, v17 op_sel_hi:[1,0,1] neg_lo:[0,0,1] neg_hi:[0,0,1]
	v_lshl_add_u32 v25, v11, 3, 0
	s_barrier
	ds_write2_b32 v23, v12, v13 offset1:1
	v_lshrrev_b32_e32 v26, 16, v13
	ds_write2_b32 v24, v16, v17 offset1:1
	v_lshrrev_b32_e32 v39, 16, v16
	;; [unrolled: 2-line block ×3, first 2 shown]
	ds_write2_b32 v27, v20, v21 offset1:1
	v_lshl_add_u32 v23, v9, 3, 0
	v_lshrrev_b32_e32 v41, 16, v14
	v_cmp_gt_u32_e32 vcc, s2, v5
	v_lshrrev_b32_e32 v34, 16, v15
	v_lshrrev_b32_e32 v32, 16, v20
	;; [unrolled: 1-line block ×4, first 2 shown]
	ds_write2_b32 v23, v18, v19 offset1:1
	s_waitcnt lgkmcnt(0)
	s_barrier
	s_waitcnt lgkmcnt(0)
                                        ; implicit-def: $vgpr31
                                        ; implicit-def: $vgpr25
                                        ; implicit-def: $vgpr24
                                        ; implicit-def: $vgpr30
                                        ; implicit-def: $vgpr23
	s_and_saveexec_b64 s[2:3], vcc
	s_cbranch_execz .LBB0_15
; %bb.14:
	v_add_u32_e32 v14, 0x400, v0
	ds_read2_b32 v[12:13], v0 offset1:90
	ds_read2_b32 v[16:17], v22 offset0:52 offset1:142
	ds_read2_b32 v[14:15], v14 offset0:104 offset1:194
	;; [unrolled: 1-line block ×3, first 2 shown]
	v_add_u32_e32 v8, 0xc00, v0
	ds_read2_b32 v[22:23], v8 offset0:132 offset1:222
	v_add_u32_e32 v8, 0x800, v0
	ds_read_b32 v25, v0 offset:4320
	ds_read2_b32 v[20:21], v8 offset0:28 offset1:118
	s_waitcnt lgkmcnt(3)
	v_lshrrev_b32_e32 v27, 16, v19
	v_lshrrev_b32_e32 v26, 16, v13
	s_waitcnt lgkmcnt(2)
	v_lshrrev_b32_e32 v30, 16, v22
	v_lshrrev_b32_e32 v24, 16, v23
	;; [unrolled: 3-line block ×3, first 2 shown]
	v_lshrrev_b32_e32 v40, 16, v17
	v_lshrrev_b32_e32 v41, 16, v14
	;; [unrolled: 1-line block ×3, first 2 shown]
	s_waitcnt lgkmcnt(0)
	v_lshrrev_b32_e32 v32, 16, v20
	v_lshrrev_b32_e32 v33, 16, v21
.LBB0_15:
	s_or_b64 exec, exec, s[2:3]
	v_and_b32_e32 v8, 1, v5
	v_mul_u32_u24_e32 v28, 12, v8
	v_lshlrev_b32_e32 v28, 2, v28
	global_load_dwordx4 v[35:38], v28, s[12:13] offset:32
	global_load_dwordx4 v[42:45], v28, s[12:13] offset:16
	global_load_dwordx4 v[46:49], v28, s[12:13]
	v_lshrrev_b32_e32 v50, 16, v18
	s_movk_i32 s6, 0x388b
	s_movk_i32 s9, 0x2fb7
	s_mov_b32 s7, 0xb5ac
	s_mov_b32 s8, 0xbbc4
	;; [unrolled: 1-line block ×3, first 2 shown]
	s_movk_i32 s15, 0x3b15
	s_mov_b32 s18, 0xba95
	s_mov_b32 s24, 0xbbf1
	;; [unrolled: 1-line block ×4, first 2 shown]
	s_movk_i32 s26, 0x394e
	s_movk_i32 s25, 0x3b7b
	;; [unrolled: 1-line block ×5, first 2 shown]
	s_mov_b32 s21, 0xb94e
	s_movk_i32 s22, 0x3a95
	s_waitcnt vmcnt(0)
	s_barrier
	v_mul_f16_sdwa v29, v24, v37 dst_sel:DWORD dst_unused:UNUSED_PAD src0_sel:DWORD src1_sel:WORD_1
	v_mul_f16_sdwa v51, v22, v36 dst_sel:DWORD dst_unused:UNUSED_PAD src0_sel:DWORD src1_sel:WORD_1
	;; [unrolled: 1-line block ×20, first 2 shown]
	v_fma_f16 v29, v23, v37, -v29
	v_fma_f16 v23, v30, v36, v51
	v_fma_f16 v24, v24, v37, v52
	v_fma_f16 v30, v25, v38, -v53
	v_fma_f16 v25, v31, v38, v54
	v_fma_f16 v37, v21, v44, -v58
	v_fma_f16 v31, v32, v43, v59
	v_fma_f16 v32, v33, v44, v60
	v_fma_f16 v44, v17, v48, -v66
	v_fma_f16 v17, v39, v47, v67
	v_fma_f16 v39, v40, v48, v68
	;; [unrolled: 1-line block ×4, first 2 shown]
	v_fma_f16 v46, v13, v46, -v72
	v_mul_f16_sdwa v55, v19, v35 dst_sel:DWORD dst_unused:UNUSED_PAD src0_sel:DWORD src1_sel:WORD_1
	v_mul_f16_sdwa v63, v15, v42 dst_sel:DWORD dst_unused:UNUSED_PAD src0_sel:DWORD src1_sel:WORD_1
	;; [unrolled: 1-line block ×3, first 2 shown]
	v_fma_f16 v28, v22, v36, -v28
	v_fma_f16 v36, v20, v43, -v57
	;; [unrolled: 1-line block ×3, first 2 shown]
	v_fma_f16 v33, v50, v45, v62
	v_fma_f16 v43, v16, v47, -v65
	v_fma_f16 v45, v14, v49, -v69
	v_sub_f16_e32 v49, v41, v25
	v_sub_f16_e32 v52, v46, v30
	v_mul_f16_sdwa v56, v27, v35 dst_sel:DWORD dst_unused:UNUSED_PAD src0_sel:DWORD src1_sel:WORD_1
	v_fma_f16 v27, v27, v35, v55
	v_fma_f16 v34, v34, v42, v63
	v_fma_f16 v42, v15, v42, -v64
	v_add_f16_e32 v13, v46, v30
	v_sub_f16_e32 v48, v17, v24
	v_add_f16_e32 v15, v41, v25
	v_sub_f16_e32 v51, v43, v29
	v_mul_f16_e32 v55, 0xba95, v49
	v_mul_f16_e32 v59, 0xba95, v52
	;; [unrolled: 1-line block ×3, first 2 shown]
	v_add_f16_e32 v14, v43, v29
	v_add_f16_e32 v16, v17, v24
	v_mul_f16_e32 v54, 0xbb7b, v48
	v_mul_f16_e32 v58, 0xbb7b, v51
	;; [unrolled: 1-line block ×3, first 2 shown]
	v_fma_f16 v18, v13, s6, v55
	v_fma_f16 v20, v15, s6, -v59
	v_fma_f16 v22, v13, s9, v61
	v_fma_f16 v35, v19, v35, -v56
	;; [unrolled: 2-line block ×3, first 2 shown]
	v_fma_f16 v26, v14, s8, v62
	v_add_f16_e32 v18, v12, v18
	v_add_f16_sdwa v20, v12, v20 dst_sel:DWORD dst_unused:UNUSED_PAD src0_sel:WORD_1 src1_sel:DWORD
	v_add_f16_e32 v22, v12, v22
	v_mul_f16_e32 v79, 0xbb7b, v49
	v_mul_f16_e32 v68, 0xbbf1, v52
	v_add_f16_e32 v18, v19, v18
	v_add_f16_e32 v19, v21, v20
	;; [unrolled: 1-line block ×3, first 2 shown]
	v_fma_f16 v22, v13, s7, v79
	v_mul_f16_e32 v80, 0x394e, v48
	v_mul_f16_e32 v69, 0xb3a8, v51
	v_fma_f16 v47, v15, s9, -v68
	v_add_f16_e32 v22, v12, v22
	v_fma_f16 v26, v14, s14, v80
	v_mul_f16_e32 v91, 0xbb7b, v52
	v_fma_f16 v50, v16, s8, -v69
	v_add_f16_sdwa v47, v12, v47 dst_sel:DWORD dst_unused:UNUSED_PAD src0_sel:WORD_1 src1_sel:DWORD
	v_add_f16_e32 v22, v26, v22
	v_fma_f16 v26, v15, s7, -v91
	v_mul_f16_e32 v90, 0x394e, v51
	v_add_f16_e32 v21, v50, v47
	v_add_f16_sdwa v26, v12, v26 dst_sel:DWORD dst_unused:UNUSED_PAD src0_sel:WORD_1 src1_sel:DWORD
	v_fma_f16 v47, v16, s14, -v90
	v_sub_f16_e32 v60, v39, v23
	v_add_f16_e32 v26, v47, v26
	v_add_f16_e32 v47, v44, v28
	v_mul_f16_e32 v67, 0xb3a8, v60
	v_fma_f16 v50, v47, s8, v67
	v_sub_f16_e32 v64, v44, v28
	v_add_f16_e32 v18, v50, v18
	v_add_f16_e32 v50, v39, v23
	v_mul_f16_e32 v71, 0xb3a8, v64
	v_fma_f16 v53, v50, s8, -v71
	v_mul_f16_e32 v75, 0x3b7b, v60
	v_add_f16_e32 v19, v53, v19
	v_fma_f16 v53, v47, s7, v75
	v_mul_f16_e32 v81, 0x3b7b, v64
	v_add_f16_e32 v20, v53, v20
	v_fma_f16 v53, v50, s7, -v81
	v_mul_f16_e32 v86, 0x3770, v60
	v_add_f16_e32 v21, v53, v21
	v_fma_f16 v53, v47, s15, v86
	v_mul_f16_e32 v95, 0x3770, v64
	v_add_f16_e32 v22, v53, v22
	v_fma_f16 v53, v50, s15, -v95
	v_sub_f16_e32 v66, v40, v27
	v_add_f16_e32 v26, v53, v26
	v_add_f16_e32 v53, v45, v35
	v_mul_f16_e32 v74, 0x394e, v66
	v_fma_f16 v56, v53, s14, v74
	v_sub_f16_e32 v72, v45, v35
	v_add_f16_e32 v18, v56, v18
	v_add_f16_e32 v56, v40, v27
	v_mul_f16_e32 v78, 0x394e, v72
	v_fma_f16 v57, v56, s14, -v78
	v_mul_f16_e32 v83, 0x3770, v66
	v_add_f16_e32 v19, v57, v19
	v_fma_f16 v57, v53, s15, v83
	v_mul_f16_e32 v87, 0x3770, v72
	v_add_f16_e32 v20, v57, v20
	v_fma_f16 v57, v56, s15, -v87
	v_mul_f16_e32 v92, 0xbbf1, v66
	v_add_f16_e32 v21, v57, v21
	v_fma_f16 v57, v53, s9, v92
	v_mul_f16_e32 v99, 0xbbf1, v72
	v_add_f16_e32 v22, v57, v22
	v_fma_f16 v57, v56, s9, -v99
	v_sub_f16_e32 v73, v34, v33
	v_add_f16_e32 v26, v57, v26
	v_add_f16_e32 v57, v42, v38
	v_mul_f16_e32 v82, 0x3bf1, v73
	v_fma_f16 v63, v57, s9, v82
	v_sub_f16_e32 v76, v42, v38
	v_add_f16_e32 v18, v63, v18
	v_add_f16_e32 v63, v34, v33
	v_mul_f16_e32 v85, 0x3bf1, v76
	v_fma_f16 v65, v63, s9, -v85
	v_mul_f16_e32 v89, 0xba95, v73
	v_add_f16_e32 v19, v65, v19
	v_fma_f16 v65, v57, s6, v89
	v_mul_f16_e32 v94, 0xba95, v76
	v_add_f16_e32 v98, v65, v20
	v_fma_f16 v20, v63, s6, -v94
	v_mul_f16_e32 v97, 0x33a8, v73
	v_add_f16_e32 v100, v20, v21
	v_fma_f16 v20, v57, s8, v97
	v_mul_f16_e32 v101, 0x33a8, v76
	v_sub_f16_e32 v77, v31, v32
	v_add_f16_e32 v102, v20, v22
	v_fma_f16 v20, v63, s8, -v101
	v_add_f16_e32 v65, v36, v37
	v_mul_f16_e32 v88, 0x3770, v77
	v_sub_f16_e32 v84, v36, v37
	v_add_f16_e32 v103, v20, v26
	v_fma_f16 v20, v65, s15, v88
	v_add_f16_e32 v70, v31, v32
	v_mul_f16_e32 v93, 0x3770, v84
	v_add_f16_e32 v20, v20, v18
	v_fma_f16 v18, v70, s15, -v93
	v_mul_f16_e32 v96, 0xb94e, v77
	v_add_f16_e32 v21, v18, v19
	v_fma_f16 v18, v65, s14, v96
	v_add_f16_e32 v22, v18, v98
	v_mul_f16_e32 v98, 0xb94e, v84
	v_fma_f16 v18, v70, s14, -v98
	v_add_f16_e32 v26, v18, v100
	v_mul_f16_e32 v100, 0x3a95, v77
	v_fma_f16 v18, v65, s6, v100
	v_add_f16_e32 v18, v18, v102
	v_mul_f16_e32 v102, 0x3a95, v84
	v_fma_f16 v19, v70, s6, -v102
	v_add_f16_e32 v19, v19, v103
	s_and_saveexec_b64 s[2:3], vcc
	s_cbranch_execz .LBB0_17
; %bb.16:
	v_mul_f16_e32 v103, 0xb9fd, v15
	v_fma_f16 v104, v52, s26, v103
	v_mul_f16_e32 v105, 0x2fb7, v16
	v_add_f16_sdwa v104, v12, v104 dst_sel:DWORD dst_unused:UNUSED_PAD src0_sel:WORD_1 src1_sel:DWORD
	v_fma_f16 v106, v51, s24, v105
	v_add_f16_e32 v104, v106, v104
	v_mul_f16_e32 v106, 0x388b, v50
	v_fma_f16 v107, v64, s22, v106
	v_add_f16_e32 v104, v107, v104
	v_mul_f16_e32 v107, 0xbbc4, v56
	;; [unrolled: 3-line block ×3, first 2 shown]
	s_mov_b32 s27, 0xb770
	v_fma_f16 v109, v76, s27, v108
	v_add_f16_e32 v104, v109, v104
	v_mul_f16_e32 v109, 0xb5ac, v70
	v_fma_f16 v110, v84, s25, v109
	v_add_f16_e32 v104, v110, v104
	v_mul_f16_e32 v110, 0xb94e, v49
	v_fma_f16 v111, v13, s14, v110
	v_mul_f16_e32 v112, 0x3bf1, v48
	v_add_f16_e32 v111, v12, v111
	v_fma_f16 v113, v14, s9, v112
	v_add_f16_e32 v111, v113, v111
	v_mul_f16_e32 v113, 0xba95, v60
	v_fma_f16 v114, v47, s6, v113
	v_add_f16_e32 v111, v114, v111
	v_mul_f16_e32 v114, 0x33a8, v66
	;; [unrolled: 3-line block ×5, first 2 shown]
	v_fma_f16 v118, v52, s19, v117
	v_mul_f16_e32 v119, 0x3b15, v16
	v_add_f16_sdwa v118, v12, v118 dst_sel:DWORD dst_unused:UNUSED_PAD src0_sel:WORD_1 src1_sel:DWORD
	v_fma_f16 v120, v51, s27, v119
	v_add_f16_e32 v118, v120, v118
	v_mul_f16_e32 v120, 0xb9fd, v50
	v_fma_f16 v121, v64, s26, v120
	v_add_f16_e32 v118, v121, v118
	v_mul_f16_e32 v121, 0x388b, v56
	;; [unrolled: 3-line block ×3, first 2 shown]
	v_fma_f16 v123, v76, s25, v122
	v_fma_f16 v117, v52, s23, v117
	v_add_f16_e32 v118, v123, v118
	v_mul_f16_e32 v123, 0x2fb7, v70
	v_add_f16_sdwa v117, v12, v117 dst_sel:DWORD dst_unused:UNUSED_PAD src0_sel:WORD_1 src1_sel:DWORD
	v_fma_f16 v119, v51, s17, v119
	v_fma_f16 v124, v84, s24, v123
	v_add_f16_e32 v117, v119, v117
	v_fma_f16 v119, v64, s21, v120
	v_fma_f16 v103, v52, s21, v103
	v_fma_f16 v110, v13, s14, -v110
	v_add_f16_e32 v118, v124, v118
	v_mul_f16_e32 v124, 0xb3a8, v49
	v_add_f16_e32 v117, v119, v117
	v_fma_f16 v119, v72, s22, v121
	v_add_f16_sdwa v103, v12, v103 dst_sel:DWORD dst_unused:UNUSED_PAD src0_sel:WORD_1 src1_sel:DWORD
	v_fma_f16 v105, v51, s20, v105
	v_add_f16_e32 v110, v12, v110
	v_fma_f16 v112, v14, s9, -v112
	v_fma_f16 v125, v13, s8, v124
	v_mul_f16_e32 v126, 0x3770, v48
	v_add_f16_e32 v117, v119, v117
	v_fma_f16 v119, v76, s16, v122
	v_add_f16_e32 v103, v105, v103
	v_fma_f16 v106, v64, s18, v106
	v_add_f16_e32 v110, v112, v110
	v_fma_f16 v113, v47, s6, -v113
	v_add_f16_e32 v125, v12, v125
	v_fma_f16 v127, v14, s15, v126
	v_add_f16_e32 v117, v119, v117
	v_fma_f16 v119, v84, s20, v123
	v_add_f16_e32 v103, v106, v103
	v_mul_f16_e32 v106, 0xb5ac, v15
	v_add_f16_e32 v110, v113, v110
	v_fma_f16 v114, v53, s8, -v114
	v_add_f16_e32 v125, v127, v125
	v_mul_f16_e32 v127, 0xb94e, v60
	v_add_f16_e32 v117, v119, v117
	v_fma_f16 v119, v13, s8, -v124
	v_add_f16_e32 v110, v114, v110
	v_mul_f16_e32 v114, 0xb9fd, v16
	v_add_f16_e32 v91, v91, v106
	v_fma_f16 v128, v47, s14, v127
	v_add_f16_e32 v119, v12, v119
	v_fma_f16 v120, v14, s15, -v126
	v_add_f16_e32 v90, v90, v114
	v_add_f16_sdwa v91, v12, v91 dst_sel:DWORD dst_unused:UNUSED_PAD src0_sel:WORD_1 src1_sel:DWORD
	v_add_f16_e32 v125, v128, v125
	v_mul_f16_e32 v128, 0x3a95, v66
	v_add_f16_e32 v119, v120, v119
	v_fma_f16 v120, v47, s14, -v127
	v_add_f16_e32 v90, v90, v91
	v_mul_f16_e32 v91, 0x3b15, v50
	v_fma_f16 v129, v53, s6, v128
	v_add_f16_e32 v119, v120, v119
	v_mul_f16_e32 v120, 0x388b, v13
	v_fma_f16 v121, v53, s6, -v128
	v_mul_f16_e32 v105, 0xb5ac, v13
	v_fma_f16 v107, v72, s19, v107
	v_add_f16_e32 v91, v95, v91
	v_add_f16_e32 v125, v129, v125
	v_mul_f16_e32 v129, 0xbb7b, v73
	v_add_f16_e32 v119, v121, v119
	v_mul_f16_e32 v121, 0x388b, v15
	;; [unrolled: 2-line block ×3, first 2 shown]
	v_fma_f16 v108, v76, s17, v108
	v_mul_f16_e32 v113, 0xb9fd, v14
	v_fma_f16 v115, v57, s15, -v115
	v_add_f16_e32 v90, v91, v90
	v_mul_f16_e32 v91, 0x2fb7, v56
	v_sub_f16_e32 v79, v105, v79
	v_sub_f16_e32 v55, v120, v55
	v_fma_f16 v122, v57, s7, -v129
	v_add_f16_e32 v103, v108, v103
	v_mul_f16_e32 v108, 0xb5ac, v16
	v_add_f16_e32 v110, v115, v110
	v_mul_f16_e32 v115, 0xbbc4, v47
	v_fma_f16 v116, v65, s7, -v116
	v_mul_f16_e32 v95, 0x3b15, v47
	v_add_f16_e32 v91, v99, v91
	v_sub_f16_e32 v80, v113, v80
	v_add_f16_e32 v79, v12, v79
	v_add_f16_e32 v59, v59, v121
	;; [unrolled: 1-line block ×3, first 2 shown]
	v_sub_f16_e32 v54, v107, v54
	v_add_f16_e32 v119, v122, v119
	v_mul_f16_e32 v122, 0x2fb7, v13
	v_fma_f16 v109, v84, s16, v109
	v_add_f16_e32 v110, v116, v110
	v_mul_f16_e32 v116, 0xbbc4, v50
	v_mul_f16_e32 v99, 0xb9fd, v53
	v_add_f16_e32 v90, v91, v90
	v_mul_f16_e32 v91, 0xbbc4, v63
	v_mul_f16_e32 v105, 0x2fb7, v53
	v_add_f16_e32 v79, v80, v79
	v_sub_f16_e32 v86, v95, v86
	v_add_f16_sdwa v59, v12, v59 dst_sel:DWORD dst_unused:UNUSED_PAD src0_sel:WORD_1 src1_sel:DWORD
	v_add_f16_e32 v58, v58, v108
	v_add_f16_e32 v54, v54, v55
	v_sub_f16_e32 v55, v115, v67
	v_add_f16_e32 v103, v109, v103
	v_mul_f16_e32 v109, 0xbbc4, v14
	v_add_f16_e32 v91, v101, v91
	v_mul_f16_e32 v101, 0xb9fd, v56
	v_mul_f16_e32 v113, 0x2fb7, v57
	v_add_f16_e32 v79, v86, v79
	v_sub_f16_e32 v92, v105, v92
	v_sub_f16_e32 v61, v122, v61
	v_add_f16_e32 v58, v58, v59
	v_add_f16_e32 v59, v71, v116
	v_add_f16_e32 v54, v55, v54
	v_sub_f16_e32 v55, v99, v74
	v_mul_f16_e32 v106, 0xb5ac, v47
	v_add_f16_e32 v90, v91, v90
	v_mul_f16_e32 v91, 0x388b, v70
	v_mul_f16_e32 v80, 0x2fb7, v63
	;; [unrolled: 1-line block ×3, first 2 shown]
	v_add_f16_e32 v79, v92, v79
	v_mul_f16_e32 v92, 0x3b15, v65
	v_add_f16_e32 v61, v12, v61
	v_sub_f16_e32 v62, v109, v62
	v_add_f16_e32 v58, v59, v58
	v_add_f16_e32 v59, v78, v101
	v_add_f16_e32 v54, v55, v54
	v_sub_f16_e32 v55, v113, v82
	v_fma_f16 v130, v57, s7, v129
	v_add_f16_e32 v91, v102, v91
	v_mul_f16_e32 v102, 0x3b15, v53
	v_sub_f16_e32 v97, v105, v97
	v_mul_f16_e32 v105, 0x3b15, v70
	v_add_f16_e32 v61, v62, v61
	v_sub_f16_e32 v62, v106, v75
	v_add_f16_e32 v58, v59, v58
	v_add_f16_e32 v59, v85, v80
	;; [unrolled: 1-line block ×3, first 2 shown]
	v_sub_f16_e32 v55, v92, v88
	v_mul_f16_e32 v52, 0xb770, v52
	v_add_f16_e32 v46, v12, v46
	v_add_f16_e32 v125, v130, v125
	v_mul_f16_e32 v130, 0x3bf1, v77
	v_mul_f16_e32 v95, 0x388b, v57
	v_add_f16_e32 v79, v97, v79
	v_mul_f16_e32 v97, 0x388b, v65
	v_add_f16_e32 v61, v62, v61
	v_sub_f16_e32 v62, v102, v83
	v_add_f16_e32 v58, v59, v58
	v_add_f16_e32 v59, v93, v105
	;; [unrolled: 1-line block ×3, first 2 shown]
	v_fma_f16 v55, v15, s15, v52
	v_mul_f16_e32 v51, 0xba95, v51
	v_add_f16_e32 v43, v46, v43
	v_fma_f16 v123, v65, s9, -v130
	v_sub_f16_e32 v97, v97, v100
	v_mul_f16_e32 v100, 0xb9fd, v65
	v_add_f16_e32 v61, v62, v61
	v_sub_f16_e32 v62, v95, v89
	v_add_f16_e32 v58, v59, v58
	v_add_f16_sdwa v55, v12, v55 dst_sel:DWORD dst_unused:UNUSED_PAD src0_sel:WORD_1 src1_sel:DWORD
	v_fma_f16 v59, v16, s6, v51
	v_add_f16_e32 v43, v43, v44
	v_add_f16_e32 v119, v123, v119
	v_mul_f16_e32 v123, 0x2fb7, v15
	v_add_f16_e32 v61, v62, v61
	v_sub_f16_e32 v62, v100, v96
	v_add_f16_e32 v55, v59, v55
	v_mul_f16_e32 v59, 0xbbf1, v64
	v_add_f16_e32 v43, v43, v45
	v_mul_f16_e32 v112, 0xbbc4, v16
	v_add_f16_e32 v68, v68, v123
	v_add_f16_e32 v61, v62, v61
	v_fma_f16 v62, v50, s9, v59
	v_add_f16_e32 v42, v43, v42
	v_mul_f16_e32 v114, 0xb5ac, v50
	v_add_f16_sdwa v68, v12, v68 dst_sel:DWORD dst_unused:UNUSED_PAD src0_sel:WORD_1 src1_sel:DWORD
	v_add_f16_e32 v69, v69, v112
	v_add_f16_e32 v55, v62, v55
	v_mul_f16_e32 v62, 0xbb7b, v72
	v_add_f16_e32 v36, v42, v36
	v_add_f16_e32 v90, v91, v90
	v_mul_f16_e32 v91, 0x3b15, v56
	v_add_f16_e32 v68, v69, v68
	v_add_f16_e32 v69, v81, v114
	v_fma_f16 v64, v56, s7, v62
	v_add_f16_e32 v36, v36, v37
	v_mul_f16_e32 v86, 0x388b, v63
	v_add_f16_e32 v68, v69, v68
	v_add_f16_e32 v69, v87, v91
	;; [unrolled: 1-line block ×3, first 2 shown]
	v_mul_f16_e32 v64, 0xb94e, v76
	v_add_f16_e32 v36, v36, v38
	v_add_f16_e32 v79, v97, v79
	v_mul_f16_e32 v97, 0xb9fd, v70
	v_add_f16_e32 v68, v69, v68
	v_add_f16_e32 v69, v94, v86
	v_fma_f16 v67, v63, s14, v64
	v_add_f16_e32 v35, v36, v35
	v_add_f16_e32 v68, v69, v68
	;; [unrolled: 1-line block ×4, first 2 shown]
	v_mul_f16_e32 v67, 0xb3a8, v84
	v_add_f16_e32 v28, v35, v28
	v_add_f16_e32 v68, v69, v68
	v_fma_f16 v69, v70, s8, v67
	v_mul_f16_e32 v49, 0xb770, v49
	v_add_f16_e32 v28, v28, v29
	v_add_f16_sdwa v29, v12, v41 dst_sel:DWORD dst_unused:UNUSED_PAD src0_sel:WORD_1 src1_sel:DWORD
	v_add_f16_e32 v55, v69, v55
	v_fma_f16 v69, v13, s15, -v49
	v_mul_f16_e32 v48, 0xba95, v48
	v_add_f16_e32 v17, v29, v17
	v_add_f16_e32 v69, v12, v69
	v_fma_f16 v71, v14, s6, -v48
	v_mul_f16_e32 v60, 0xbbf1, v60
	v_add_f16_e32 v17, v17, v39
	;; [unrolled: 4-line block ×3, first 2 shown]
	v_fma_f16 v15, v15, s15, -v52
	v_fma_f16 v13, v13, s15, v49
	v_add_f16_e32 v69, v71, v69
	v_fma_f16 v71, v53, s7, -v66
	v_add_f16_e32 v17, v17, v34
	v_add_f16_sdwa v15, v12, v15 dst_sel:DWORD dst_unused:UNUSED_PAD src0_sel:WORD_1 src1_sel:DWORD
	v_add_f16_e32 v12, v12, v13
	v_fma_f16 v13, v14, s6, v48
	v_add_f16_e32 v69, v71, v69
	v_mul_f16_e32 v71, 0xb94e, v73
	v_add_f16_e32 v17, v17, v31
	v_add_f16_e32 v12, v13, v12
	v_fma_f16 v13, v47, s9, v60
	v_fma_f16 v72, v57, s14, -v71
	v_add_f16_e32 v17, v17, v32
	v_add_f16_e32 v12, v13, v12
	v_fma_f16 v13, v53, s7, v66
	v_add_f16_e32 v69, v72, v69
	v_mul_f16_e32 v72, 0xb3a8, v77
	v_add_f16_e32 v17, v17, v33
	v_add_f16_e32 v12, v13, v12
	v_fma_f16 v13, v57, s14, v71
	v_add_f16_e32 v17, v17, v27
	v_add_f16_e32 v12, v13, v12
	v_fma_f16 v13, v65, s8, v72
	v_add_f16_e32 v17, v17, v23
	v_add_f16_e32 v12, v13, v12
	v_lshrrev_b32_e32 v13, 1, v5
	v_fma_f16 v73, v65, s8, -v72
	v_add_f16_e32 v17, v17, v24
	v_mul_u32_u24_e32 v13, 26, v13
	v_add_f16_e32 v69, v73, v69
	v_add_f16_e32 v28, v28, v30
	v_add_f16_e32 v17, v17, v25
	v_fma_f16 v16, v16, s6, -v51
	v_or_b32_e32 v8, v13, v8
	v_add_f16_e32 v15, v16, v15
	v_fma_f16 v16, v50, s9, -v59
	v_lshl_add_u32 v8, v8, 2, 0
	v_pack_b32_f16 v13, v28, v17
	v_pack_b32_f16 v14, v69, v55
	v_fma_f16 v131, v65, s9, v130
	v_add_f16_e32 v15, v16, v15
	v_fma_f16 v16, v56, s7, -v62
	ds_write2_b32 v8, v13, v14 offset1:2
	v_pack_b32_f16 v13, v54, v58
	v_pack_b32_f16 v14, v61, v68
	v_add_f16_e32 v125, v131, v125
	v_add_f16_e32 v15, v16, v15
	v_fma_f16 v16, v63, s14, -v64
	ds_write2_b32 v8, v13, v14 offset0:4 offset1:6
	v_pack_b32_f16 v13, v79, v90
	v_pack_b32_f16 v14, v110, v103
	v_add_f16_e32 v15, v16, v15
	v_fma_f16 v16, v70, s8, -v67
	ds_write2_b32 v8, v13, v14 offset0:8 offset1:10
	v_pack_b32_f16 v13, v119, v117
	v_pack_b32_f16 v14, v125, v118
	s_mov_b32 s6, 0x5040100
	v_add_f16_e32 v15, v16, v15
	ds_write2_b32 v8, v13, v14 offset0:12 offset1:14
	v_pack_b32_f16 v13, v111, v104
	v_perm_b32 v14, v19, v18, s6
	ds_write2_b32 v8, v13, v14 offset0:16 offset1:18
	v_perm_b32 v13, v26, v22, s6
	v_perm_b32 v14, v21, v20, s6
	v_pack_b32_f16 v12, v12, v15
	ds_write2_b32 v8, v13, v14 offset0:20 offset1:22
	ds_write_b32 v8, v12 offset:96
.LBB0_17:
	s_or_b64 exec, exec, s[2:3]
	v_add_u32_e32 v8, 0x400, v0
	s_waitcnt lgkmcnt(0)
	s_barrier
	ds_read2_b32 v[12:13], v8 offset0:134 offset1:251
	v_add_u32_e32 v8, 0x900, v0
	ds_read2_b32 v[14:15], v8 offset0:48 offset1:204
	v_add_u32_e32 v8, 0xc00, v0
	v_lshl_add_u32 v25, v7, 2, 0
	ds_read2_b32 v[16:17], v8 offset0:129 offset1:246
	v_lshl_add_u32 v24, v11, 2, 0
	ds_read_b32 v28, v0
	ds_read_b32 v27, v25
	;; [unrolled: 1-line block ×3, first 2 shown]
	v_cmp_gt_u32_e32 vcc, 39, v5
	v_lshl_add_u32 v23, v10, 2, 0
	s_and_saveexec_b64 s[2:3], vcc
	s_cbranch_execz .LBB0_19
; %bb.18:
	ds_read_b32 v18, v23
	ds_read_b32 v20, v0 offset:4524
	ds_read_b32 v22, v0 offset:2964
	s_waitcnt lgkmcnt(2)
	v_lshrrev_b32_e32 v19, 16, v18
	s_waitcnt lgkmcnt(1)
	v_lshrrev_b32_e32 v21, 16, v20
	;; [unrolled: 2-line block ×3, first 2 shown]
.LBB0_19:
	s_or_b64 exec, exec, s[2:3]
	s_movk_i32 s2, 0x4f
	v_mul_lo_u16_sdwa v29, v5, s2 dst_sel:DWORD dst_unused:UNUSED_PAD src0_sel:BYTE_0 src1_sel:DWORD
	v_mul_lo_u16_sdwa v31, v7, s2 dst_sel:DWORD dst_unused:UNUSED_PAD src0_sel:BYTE_0 src1_sel:DWORD
	v_lshrrev_b16_e32 v40, 11, v29
	v_lshrrev_b16_e32 v42, 11, v31
	v_mul_lo_u16_e32 v29, 26, v40
	v_mul_lo_u16_e32 v31, 26, v42
	s_movk_i32 s2, 0x4ec5
	v_sub_u16_e32 v41, v5, v29
	v_mov_b32_e32 v29, 3
	v_sub_u16_e32 v43, v7, v31
	v_mul_u32_u24_sdwa v31, v11, s2 dst_sel:DWORD dst_unused:UNUSED_PAD src0_sel:WORD_0 src1_sel:DWORD
	v_lshlrev_b32_sdwa v30, v29, v41 dst_sel:DWORD dst_unused:UNUSED_PAD src0_sel:DWORD src1_sel:BYTE_0
	v_lshlrev_b32_sdwa v29, v29, v43 dst_sel:DWORD dst_unused:UNUSED_PAD src0_sel:DWORD src1_sel:BYTE_0
	v_lshrrev_b32_e32 v44, 19, v31
	global_load_dwordx2 v[32:33], v30, s[12:13] offset:96
	global_load_dwordx2 v[34:35], v29, s[12:13] offset:96
	v_mul_lo_u16_e32 v30, 26, v44
	v_sub_u16_e32 v45, v11, v30
	v_mul_u32_u24_sdwa v30, v10, s2 dst_sel:DWORD dst_unused:UNUSED_PAD src0_sel:WORD_0 src1_sel:DWORD
	v_lshlrev_b32_e32 v29, 3, v45
	v_lshrrev_b32_e32 v30, 19, v30
	global_load_dwordx2 v[36:37], v29, s[12:13] offset:96
	v_mul_lo_u16_e32 v29, 26, v30
	v_sub_u16_e32 v31, v10, v29
	v_lshlrev_b32_e32 v29, 3, v31
	global_load_dwordx2 v[38:39], v29, s[12:13] offset:96
	s_waitcnt lgkmcnt(5)
	v_lshrrev_b32_e32 v48, 16, v12
	s_waitcnt lgkmcnt(4)
	v_lshrrev_b32_e32 v49, 16, v15
	v_lshrrev_b32_e32 v50, 16, v13
	s_waitcnt lgkmcnt(3)
	v_lshrrev_b32_e32 v51, 16, v16
	v_lshrrev_b32_e32 v52, 16, v14
	s_waitcnt lgkmcnt(2)
	v_lshrrev_b32_e32 v29, 16, v28
	s_waitcnt lgkmcnt(1)
	v_lshrrev_b32_e32 v46, 16, v27
	s_movk_i32 s2, 0x3aee
	s_mov_b32 s3, 0xbaee
	v_lshrrev_b32_e32 v53, 16, v17
	s_waitcnt lgkmcnt(0)
	v_lshrrev_b32_e32 v47, 16, v8
	s_waitcnt vmcnt(0)
	s_barrier
	v_mul_f16_sdwa v54, v32, v48 dst_sel:DWORD dst_unused:UNUSED_PAD src0_sel:WORD_1 src1_sel:DWORD
	v_mul_f16_sdwa v55, v32, v12 dst_sel:DWORD dst_unused:UNUSED_PAD src0_sel:WORD_1 src1_sel:DWORD
	;; [unrolled: 1-line block ×8, first 2 shown]
	v_fma_f16 v54, v32, v12, -v54
	v_fma_f16 v32, v32, v48, v55
	v_fma_f16 v48, v33, v15, -v56
	v_fma_f16 v33, v33, v49, v57
	v_fma_f16 v49, v34, v13, -v58
	v_fma_f16 v34, v34, v50, v59
	v_fma_f16 v50, v35, v16, -v60
	v_mul_f16_sdwa v62, v36, v52 dst_sel:DWORD dst_unused:UNUSED_PAD src0_sel:WORD_1 src1_sel:DWORD
	v_mul_f16_sdwa v63, v36, v14 dst_sel:DWORD dst_unused:UNUSED_PAD src0_sel:WORD_1 src1_sel:DWORD
	v_mul_f16_sdwa v66, v26, v38 dst_sel:DWORD dst_unused:UNUSED_PAD src0_sel:DWORD src1_sel:WORD_1
	v_mul_f16_sdwa v67, v22, v38 dst_sel:DWORD dst_unused:UNUSED_PAD src0_sel:DWORD src1_sel:WORD_1
	;; [unrolled: 1-line block ×4, first 2 shown]
	v_fma_f16 v35, v35, v51, v61
	v_add_f16_e32 v51, v49, v50
	v_fma_f16 v14, v36, v14, -v62
	v_fma_f16 v36, v36, v52, v63
	v_fma_f16 v12, v22, v38, -v66
	v_fma_f16 v15, v26, v38, v67
	;; [unrolled: 2-line block ×3, first 2 shown]
	v_add_f16_e32 v20, v28, v54
	v_add_f16_e32 v21, v54, v48
	v_sub_f16_e32 v22, v32, v33
	v_add_f16_e32 v26, v29, v32
	v_add_f16_e32 v32, v32, v33
	;; [unrolled: 1-line block ×3, first 2 shown]
	v_sub_f16_e32 v52, v34, v35
	v_fma_f16 v27, v51, -0.5, v27
	v_sub_f16_e32 v38, v54, v48
	v_add_f16_e32 v20, v20, v48
	v_fma_f16 v21, v21, -0.5, v28
	v_fma_f16 v28, v32, -0.5, v29
	v_add_f16_e32 v32, v39, v50
	v_fma_f16 v39, v52, s2, v27
	v_fma_f16 v48, v52, s3, v27
	v_add_f16_e32 v27, v46, v34
	v_add_f16_e32 v51, v27, v35
	;; [unrolled: 1-line block ×3, first 2 shown]
	v_mul_f16_sdwa v64, v37, v53 dst_sel:DWORD dst_unused:UNUSED_PAD src0_sel:WORD_1 src1_sel:DWORD
	v_add_f16_e32 v26, v26, v33
	v_fma_f16 v33, v22, s2, v21
	v_fma_f16 v21, v22, s3, v21
	;; [unrolled: 1-line block ×4, first 2 shown]
	v_fma_f16 v27, v27, -0.5, v46
	v_sub_f16_e32 v28, v49, v50
	v_mul_f16_sdwa v65, v37, v17 dst_sel:DWORD dst_unused:UNUSED_PAD src0_sel:WORD_1 src1_sel:DWORD
	v_fma_f16 v17, v37, v17, -v64
	v_fma_f16 v34, v28, s3, v27
	v_fma_f16 v35, v28, s2, v27
	v_add_f16_e32 v27, v8, v14
	v_fma_f16 v37, v37, v53, v65
	v_add_f16_e32 v46, v27, v17
	v_add_f16_e32 v27, v14, v17
	v_fma_f16 v8, v27, -0.5, v8
	v_sub_f16_e32 v27, v36, v37
	v_fma_f16 v49, v27, s2, v8
	v_fma_f16 v50, v27, s3, v8
	v_add_f16_e32 v8, v47, v36
	v_add_f16_e32 v52, v8, v37
	;; [unrolled: 1-line block ×3, first 2 shown]
	v_fma_f16 v8, v8, -0.5, v47
	v_sub_f16_e32 v14, v14, v17
	v_fma_f16 v17, v14, s3, v8
	v_fma_f16 v36, v14, s2, v8
	v_add_f16_e32 v8, v12, v13
	v_fma_f16 v8, v8, -0.5, v18
	v_sub_f16_e32 v14, v15, v16
	v_fma_f16 v27, v14, s2, v8
	v_fma_f16 v8, v14, s3, v8
	v_add_f16_e32 v14, v15, v16
	v_fma_f16 v14, v14, -0.5, v19
	v_sub_f16_e32 v28, v12, v13
	v_fma_f16 v29, v28, s3, v14
	v_fma_f16 v28, v28, s2, v14
	v_mov_b32_e32 v14, 2
	v_mul_u32_u24_e32 v37, 0x138, v40
	v_lshlrev_b32_sdwa v40, v14, v41 dst_sel:DWORD dst_unused:UNUSED_PAD src0_sel:DWORD src1_sel:BYTE_0
	v_add3_u32 v37, 0, v37, v40
	v_pack_b32_f16 v20, v20, v26
	v_pack_b32_f16 v22, v33, v22
	ds_write2_b32 v37, v20, v22 offset1:26
	v_pack_b32_f16 v20, v21, v38
	ds_write_b32 v37, v20 offset:208
	v_mul_u32_u24_e32 v20, 0x138, v42
	v_lshlrev_b32_sdwa v21, v14, v43 dst_sel:DWORD dst_unused:UNUSED_PAD src0_sel:DWORD src1_sel:BYTE_0
	v_add3_u32 v20, 0, v20, v21
	v_pack_b32_f16 v21, v32, v51
	v_pack_b32_f16 v22, v39, v34
	ds_write2_b32 v20, v21, v22 offset1:26
	v_pack_b32_f16 v21, v48, v35
	ds_write_b32 v20, v21 offset:208
	v_mul_u32_u24_e32 v20, 0x138, v44
	v_lshlrev_b32_e32 v21, 2, v45
	v_add3_u32 v20, 0, v20, v21
	v_pack_b32_f16 v21, v46, v52
	v_pack_b32_f16 v17, v49, v17
	ds_write2_b32 v20, v21, v17 offset1:26
	v_pack_b32_f16 v17, v50, v36
	ds_write_b32 v20, v17 offset:208
	s_and_saveexec_b64 s[2:3], vcc
	s_cbranch_execz .LBB0_21
; %bb.20:
	v_add_f16_e32 v12, v18, v12
	v_add_f16_e32 v15, v19, v15
	;; [unrolled: 1-line block ×3, first 2 shown]
	v_mul_lo_u16_e32 v13, 0x4e, v30
	v_add_f16_e32 v15, v15, v16
	v_lshlrev_b32_e32 v16, 2, v31
	v_lshlrev_b32_e32 v13, 2, v13
	s_mov_b32 s6, 0x5040100
	v_add3_u32 v13, 0, v16, v13
	v_pack_b32_f16 v12, v12, v15
	v_perm_b32 v15, v29, v27, s6
	ds_write2_b32 v13, v12, v15 offset1:26
	v_perm_b32 v12, v28, v8, s6
	ds_write_b32 v13, v12 offset:208
.LBB0_21:
	s_or_b64 exec, exec, s[2:3]
	s_movk_i32 s2, 0x4e
	v_add_u32_e32 v12, 0xffffffb2, v5
	v_cmp_gt_u32_e64 s[2:3], s2, v5
	v_cndmask_b32_e64 v12, v12, v5, s[2:3]
	v_lshrrev_b16_e32 v19, 1, v7
	v_lshlrev_b32_e32 v12, 2, v12
	v_mov_b32_e32 v13, 0
	v_and_b32_e32 v19, 0x7f, v19
	v_lshlrev_b64 v[15:16], 2, v[12:13]
	v_mul_lo_u16_e32 v19, 0xd3, v19
	v_lshrrev_b16_e32 v36, 13, v19
	v_mov_b32_e32 v17, s13
	v_add_co_u32_e64 v15, s[2:3], s12, v15
	v_mul_lo_u16_e32 v19, 0x4e, v36
	v_addc_co_u32_e64 v16, s[2:3], v17, v16, s[2:3]
	v_sub_u16_e32 v37, v7, v19
	v_mov_b32_e32 v19, 4
	s_waitcnt lgkmcnt(0)
	s_barrier
	global_load_dwordx4 v[15:18], v[15:16], off offset:304
	v_lshlrev_b32_sdwa v19, v19, v37 dst_sel:DWORD dst_unused:UNUSED_PAD src0_sel:DWORD src1_sel:BYTE_0
	global_load_dwordx4 v[19:22], v19, s[12:13] offset:304
	v_lshl_add_u32 v26, v9, 2, 0
	v_add_u32_e32 v30, 0xa00, v0
	v_add_u32_e32 v34, 0xe00, v0
	v_add_u32_e32 v32, 0x540, v0
	ds_read_b32 v38, v0
	ds_read_b32 v39, v26
	ds_read2_b32 v[30:31], v30 offset0:62 offset1:179
	ds_read_b32 v40, v24
	ds_read_b32 v41, v25
	ds_read2_b32 v[32:33], v32 offset0:15 offset1:249
	ds_read2_b32 v[34:35], v34 offset0:40 offset1:157
	s_waitcnt lgkmcnt(5)
	v_lshrrev_b32_e32 v48, 16, v39
	s_waitcnt lgkmcnt(3)
	v_lshrrev_b32_e32 v43, 16, v40
	v_lshrrev_b32_e32 v49, 16, v30
	v_lshlrev_b32_sdwa v14, v14, v37 dst_sel:DWORD dst_unused:UNUSED_PAD src0_sel:DWORD src1_sel:BYTE_0
	s_waitcnt lgkmcnt(0)
	v_lshrrev_b32_e32 v50, 16, v34
	v_lshrrev_b32_e32 v37, 16, v32
	;; [unrolled: 1-line block ×5, first 2 shown]
	s_movk_i32 s2, 0x3b9c
	s_mov_b32 s7, 0xbb9c
	s_movk_i32 s3, 0x38b4
	s_mov_b32 s8, 0xb8b4
	s_movk_i32 s6, 0x34f2
	v_lshrrev_b32_e32 v42, 16, v38
	v_lshrrev_b32_e32 v44, 16, v41
	s_waitcnt vmcnt(0)
	s_barrier
	v_mul_f16_sdwa v51, v15, v43 dst_sel:DWORD dst_unused:UNUSED_PAD src0_sel:WORD_1 src1_sel:DWORD
	v_mul_f16_sdwa v52, v15, v40 dst_sel:DWORD dst_unused:UNUSED_PAD src0_sel:WORD_1 src1_sel:DWORD
	;; [unrolled: 1-line block ×8, first 2 shown]
	v_fma_f16 v40, v15, v40, -v51
	v_fma_f16 v15, v15, v43, v52
	v_fma_f16 v39, v16, v39, -v53
	v_fma_f16 v30, v17, v30, -v55
	v_mul_f16_sdwa v43, v19, v37 dst_sel:DWORD dst_unused:UNUSED_PAD src0_sel:WORD_1 src1_sel:DWORD
	v_fma_f16 v16, v16, v48, v54
	v_fma_f16 v17, v17, v49, v56
	v_fma_f16 v34, v18, v34, -v57
	v_fma_f16 v18, v18, v50, v58
	v_mul_f16_sdwa v48, v19, v32 dst_sel:DWORD dst_unused:UNUSED_PAD src0_sel:WORD_1 src1_sel:DWORD
	v_mul_f16_sdwa v49, v45, v20 dst_sel:DWORD dst_unused:UNUSED_PAD src0_sel:DWORD src1_sel:WORD_1
	v_mul_f16_sdwa v50, v33, v20 dst_sel:DWORD dst_unused:UNUSED_PAD src0_sel:DWORD src1_sel:WORD_1
	v_fma_f16 v32, v19, v32, -v43
	v_add_f16_e32 v43, v39, v30
	v_mul_f16_sdwa v51, v46, v21 dst_sel:DWORD dst_unused:UNUSED_PAD src0_sel:DWORD src1_sel:WORD_1
	v_mul_f16_sdwa v52, v31, v21 dst_sel:DWORD dst_unused:UNUSED_PAD src0_sel:DWORD src1_sel:WORD_1
	;; [unrolled: 1-line block ×4, first 2 shown]
	v_fma_f16 v33, v33, v20, -v49
	v_fma_f16 v20, v45, v20, v50
	v_sub_f16_e32 v45, v15, v18
	v_fma_f16 v43, v43, -0.5, v38
	v_fma_f16 v19, v19, v37, v48
	v_fma_f16 v31, v31, v21, -v51
	v_fma_f16 v21, v46, v21, v52
	v_fma_f16 v35, v35, v22, -v53
	v_fma_f16 v22, v47, v22, v54
	v_sub_f16_e32 v46, v16, v17
	v_sub_f16_e32 v47, v40, v39
	v_fma_f16 v48, v45, s2, v43
	v_sub_f16_e32 v49, v34, v30
	v_fma_f16 v43, v45, s7, v43
	v_fma_f16 v48, v46, s3, v48
	v_add_f16_e32 v47, v47, v49
	v_fma_f16 v43, v46, s8, v43
	v_add_f16_e32 v37, v38, v40
	v_fma_f16 v48, v47, s6, v48
	v_fma_f16 v43, v47, s6, v43
	v_add_f16_e32 v47, v40, v34
	v_add_f16_e32 v37, v37, v39
	v_fma_f16 v38, v47, -0.5, v38
	v_add_f16_e32 v37, v37, v30
	v_fma_f16 v47, v46, s7, v38
	v_fma_f16 v38, v46, s2, v38
	v_add_f16_e32 v46, v16, v17
	v_add_f16_e32 v37, v37, v34
	v_sub_f16_e32 v49, v39, v40
	v_sub_f16_e32 v50, v30, v34
	v_fma_f16 v46, v46, -0.5, v42
	v_sub_f16_e32 v34, v40, v34
	v_fma_f16 v47, v45, s3, v47
	v_add_f16_e32 v49, v49, v50
	v_fma_f16 v38, v45, s8, v38
	v_fma_f16 v40, v34, s7, v46
	v_sub_f16_e32 v30, v39, v30
	v_fma_f16 v47, v49, s6, v47
	v_fma_f16 v38, v49, s6, v38
	;; [unrolled: 1-line block ×3, first 2 shown]
	v_sub_f16_e32 v40, v15, v16
	v_sub_f16_e32 v49, v18, v17
	v_fma_f16 v46, v34, s2, v46
	v_add_f16_e32 v45, v42, v15
	v_add_f16_e32 v40, v40, v49
	v_fma_f16 v46, v30, s3, v46
	v_add_f16_e32 v45, v45, v16
	v_fma_f16 v39, v40, s6, v39
	v_fma_f16 v40, v40, s6, v46
	v_add_f16_e32 v46, v15, v18
	v_add_f16_e32 v45, v45, v17
	v_fma_f16 v42, v46, -0.5, v42
	v_add_f16_e32 v45, v45, v18
	v_fma_f16 v46, v30, s2, v42
	v_sub_f16_e32 v15, v16, v15
	v_sub_f16_e32 v16, v17, v18
	v_fma_f16 v17, v30, s7, v42
	v_add_f16_e32 v18, v33, v31
	v_fma_f16 v46, v34, s8, v46
	v_add_f16_e32 v15, v15, v16
	v_fma_f16 v17, v34, s3, v17
	v_fma_f16 v18, v18, -0.5, v41
	v_sub_f16_e32 v34, v19, v22
	v_fma_f16 v16, v15, s6, v46
	v_fma_f16 v30, v34, s2, v18
	v_sub_f16_e32 v42, v20, v21
	v_sub_f16_e32 v46, v32, v33
	;; [unrolled: 1-line block ×3, first 2 shown]
	v_fma_f16 v18, v34, s7, v18
	v_fma_f16 v30, v42, s3, v30
	v_add_f16_e32 v46, v46, v49
	v_fma_f16 v18, v42, s8, v18
	v_fma_f16 v49, v46, s6, v30
	v_fma_f16 v30, v46, s6, v18
	v_add_f16_e32 v18, v32, v35
	v_fma_f16 v15, v15, s6, v17
	v_add_f16_e32 v17, v41, v32
	v_fma_f16 v18, v18, -0.5, v41
	v_add_f16_e32 v17, v17, v33
	v_fma_f16 v41, v42, s7, v18
	v_fma_f16 v18, v42, s2, v18
	v_add_f16_e32 v42, v20, v21
	v_add_f16_e32 v17, v17, v31
	v_sub_f16_e32 v46, v33, v32
	v_sub_f16_e32 v50, v31, v35
	v_fma_f16 v42, v42, -0.5, v44
	v_sub_f16_e32 v32, v32, v35
	v_add_f16_e32 v17, v17, v35
	v_fma_f16 v41, v34, s3, v41
	v_add_f16_e32 v46, v46, v50
	v_fma_f16 v18, v34, s8, v18
	v_fma_f16 v35, v32, s7, v42
	v_sub_f16_e32 v33, v33, v31
	v_fma_f16 v41, v46, s6, v41
	v_fma_f16 v18, v46, s6, v18
	;; [unrolled: 1-line block ×3, first 2 shown]
	v_sub_f16_e32 v35, v19, v20
	v_sub_f16_e32 v46, v22, v21
	v_add_f16_e32 v35, v35, v46
	v_fma_f16 v46, v35, s6, v31
	v_fma_f16 v31, v32, s2, v42
	v_fma_f16 v31, v33, s3, v31
	v_add_f16_e32 v34, v44, v19
	v_fma_f16 v31, v35, s6, v31
	v_add_f16_e32 v35, v19, v22
	v_add_f16_e32 v34, v34, v20
	v_fma_f16 v35, v35, -0.5, v44
	v_add_f16_e32 v34, v34, v21
	v_fma_f16 v42, v33, s2, v35
	v_sub_f16_e32 v19, v20, v19
	v_sub_f16_e32 v20, v21, v22
	v_fma_f16 v21, v33, s7, v35
	v_fma_f16 v42, v32, s8, v42
	v_add_f16_e32 v19, v19, v20
	v_fma_f16 v21, v32, s3, v21
	s_movk_i32 s2, 0x4d
	v_fma_f16 v20, v19, s6, v42
	v_fma_f16 v19, v19, s6, v21
	v_mov_b32_e32 v21, 0x618
	v_cmp_lt_u32_e64 s[2:3], s2, v5
	v_cndmask_b32_e64 v21, 0, v21, s[2:3]
	v_add3_u32 v12, 0, v21, v12
	v_pack_b32_f16 v16, v47, v16
	v_pack_b32_f16 v15, v38, v15
	v_add_f16_e32 v34, v34, v22
	v_pack_b32_f16 v21, v37, v45
	v_pack_b32_f16 v22, v48, v39
	ds_write2_b32 v12, v16, v15 offset0:156 offset1:234
	v_pack_b32_f16 v15, v43, v40
	ds_write2_b32 v12, v21, v22 offset1:78
	ds_write_b32 v12, v15 offset:1248
	v_mul_u32_u24_e32 v12, 0x618, v36
	v_add3_u32 v12, 0, v12, v14
	v_pack_b32_f16 v14, v17, v34
	v_pack_b32_f16 v15, v49, v46
	ds_write2_b32 v12, v14, v15 offset1:78
	v_pack_b32_f16 v14, v41, v20
	v_pack_b32_f16 v15, v18, v19
	ds_write2_b32 v12, v14, v15 offset0:156 offset1:234
	v_pack_b32_f16 v14, v30, v31
	ds_write_b32 v12, v14 offset:1248
	v_add_u32_e32 v12, 0x400, v0
	s_waitcnt lgkmcnt(0)
	s_barrier
	ds_read2_b32 v[14:15], v12 offset0:134 offset1:251
	v_add_u32_e32 v12, 0x900, v0
	ds_read2_b32 v[16:17], v12 offset0:48 offset1:204
	v_add_u32_e32 v12, 0xc00, v0
	ds_read2_b32 v[18:19], v12 offset0:129 offset1:246
	ds_read_b32 v34, v0
	ds_read_b32 v33, v25
	;; [unrolled: 1-line block ×3, first 2 shown]
	v_lshlrev_b32_e32 v21, 1, v7
	v_lshlrev_b32_e32 v20, 1, v11
	s_and_saveexec_b64 s[2:3], vcc
	s_cbranch_execz .LBB0_23
; %bb.22:
	ds_read_b32 v30, v23
	ds_read_b32 v8, v0 offset:4524
	ds_read_b32 v27, v0 offset:2964
	s_waitcnt lgkmcnt(2)
	v_lshrrev_b32_e32 v31, 16, v30
	s_waitcnt lgkmcnt(1)
	v_lshrrev_b32_e32 v28, 16, v8
	;; [unrolled: 2-line block ×3, first 2 shown]
.LBB0_23:
	s_or_b64 exec, exec, s[2:3]
	v_lshlrev_b32_e32 v12, 1, v5
	v_lshlrev_b64 v[35:36], 2, v[12:13]
	v_mov_b32_e32 v22, v13
	v_mov_b32_e32 v41, s13
	v_add_co_u32_e64 v35, s[2:3], s12, v35
	v_lshlrev_b64 v[21:22], 2, v[21:22]
	v_addc_co_u32_e64 v36, s[2:3], v41, v36, s[2:3]
	v_add_co_u32_e64 v21, s[2:3], s12, v21
	v_addc_co_u32_e64 v22, s[2:3], v41, v22, s[2:3]
	global_load_dwordx2 v[37:38], v[35:36], off offset:1552
	global_load_dwordx2 v[39:40], v[21:22], off offset:1552
	v_mov_b32_e32 v21, v13
	v_lshlrev_b64 v[12:13], 2, v[20:21]
	s_waitcnt lgkmcnt(5)
	v_lshrrev_b32_e32 v42, 16, v15
	v_add_co_u32_e64 v12, s[2:3], s12, v12
	v_addc_co_u32_e64 v13, s[2:3], v41, v13, s[2:3]
	global_load_dwordx2 v[12:13], v[12:13], off offset:1552
	s_waitcnt lgkmcnt(3)
	v_lshrrev_b32_e32 v41, 16, v18
	v_lshrrev_b32_e32 v35, 16, v19
	v_lshrrev_b32_e32 v36, 16, v16
	v_lshrrev_b32_e32 v43, 16, v17
	v_lshrrev_b32_e32 v44, 16, v14
	s_waitcnt lgkmcnt(1)
	v_lshrrev_b32_e32 v21, 16, v33
	v_lshrrev_b32_e32 v20, 16, v34
	s_movk_i32 s6, 0x3aee
	s_mov_b32 s7, 0xbaee
	s_waitcnt lgkmcnt(0)
	v_lshrrev_b32_e32 v22, 16, v32
	s_waitcnt vmcnt(0)
	s_barrier
	v_mul_f16_sdwa v45, v37, v44 dst_sel:DWORD dst_unused:UNUSED_PAD src0_sel:WORD_1 src1_sel:DWORD
	v_mul_f16_sdwa v49, v39, v42 dst_sel:DWORD dst_unused:UNUSED_PAD src0_sel:WORD_1 src1_sel:DWORD
	;; [unrolled: 1-line block ×7, first 2 shown]
	v_fma_f16 v15, v39, v15, -v49
	v_fma_f16 v39, v39, v42, v50
	v_mul_f16_sdwa v53, v12, v36 dst_sel:DWORD dst_unused:UNUSED_PAD src0_sel:WORD_1 src1_sel:DWORD
	v_mul_f16_sdwa v55, v13, v35 dst_sel:DWORD dst_unused:UNUSED_PAD src0_sel:WORD_1 src1_sel:DWORD
	v_fma_f16 v18, v40, v18, -v51
	v_fma_f16 v40, v40, v41, v52
	v_mul_f16_sdwa v48, v38, v17 dst_sel:DWORD dst_unused:UNUSED_PAD src0_sel:WORD_1 src1_sel:DWORD
	v_mul_f16_sdwa v54, v12, v16 dst_sel:DWORD dst_unused:UNUSED_PAD src0_sel:WORD_1 src1_sel:DWORD
	;; [unrolled: 1-line block ×3, first 2 shown]
	v_fma_f16 v14, v37, v14, -v45
	v_fma_f16 v37, v37, v44, v46
	v_fma_f16 v17, v38, v17, -v47
	v_fma_f16 v16, v12, v16, -v53
	;; [unrolled: 1-line block ×3, first 2 shown]
	v_sub_f16_e32 v45, v39, v40
	v_add_f16_e32 v46, v21, v39
	v_add_f16_e32 v39, v39, v40
	v_fma_f16 v38, v38, v43, v48
	v_fma_f16 v12, v12, v36, v54
	;; [unrolled: 1-line block ×3, first 2 shown]
	v_add_f16_e32 v36, v14, v17
	v_add_f16_e32 v43, v33, v15
	;; [unrolled: 1-line block ×3, first 2 shown]
	v_sub_f16_e32 v15, v15, v18
	v_add_f16_e32 v48, v16, v19
	v_fma_f16 v21, v39, -0.5, v21
	v_add_f16_e32 v35, v34, v14
	v_sub_f16_e32 v41, v37, v38
	v_add_f16_e32 v42, v20, v37
	v_add_f16_e32 v47, v32, v16
	v_fma_f16 v34, v36, -0.5, v34
	v_add_f16_e32 v36, v46, v40
	v_fma_f16 v32, v48, -0.5, v32
	v_fma_f16 v40, v15, s7, v21
	v_fma_f16 v15, v15, s6, v21
	v_sub_f16_e32 v21, v12, v13
	v_add_f16_e32 v37, v37, v38
	v_sub_f16_e32 v14, v14, v17
	v_add_f16_e32 v17, v35, v17
	v_add_f16_e32 v35, v42, v38
	v_fma_f16 v38, v41, s6, v34
	v_fma_f16 v34, v41, s7, v34
	;; [unrolled: 1-line block ×4, first 2 shown]
	v_add_f16_e32 v32, v22, v12
	v_add_f16_e32 v12, v12, v13
	v_fma_f16 v20, v37, -0.5, v20
	v_add_f16_e32 v32, v32, v13
	v_fma_f16 v12, v12, -0.5, v22
	v_sub_f16_e32 v13, v16, v19
	v_fma_f16 v39, v14, s7, v20
	v_fma_f16 v16, v13, s7, v12
	;; [unrolled: 1-line block ×3, first 2 shown]
	v_pack_b32_f16 v13, v17, v35
	v_fma_f16 v14, v14, s6, v20
	ds_write_b32 v0, v13
	v_pack_b32_f16 v13, v38, v39
	v_add_f16_e32 v18, v43, v18
	v_fma_f16 v33, v44, -0.5, v33
	ds_write_b32 v0, v13 offset:1560
	v_pack_b32_f16 v13, v34, v14
	v_fma_f16 v20, v45, s6, v33
	ds_write_b32 v0, v13 offset:3120
	v_pack_b32_f16 v13, v18, v36
	v_fma_f16 v33, v45, s7, v33
	ds_write_b32 v25, v13
	v_pack_b32_f16 v13, v20, v40
	v_add_f16_e32 v37, v47, v19
	ds_write_b32 v25, v13 offset:1560
	v_pack_b32_f16 v13, v33, v15
	ds_write_b32 v25, v13 offset:3120
	v_pack_b32_f16 v13, v37, v32
	ds_write_b32 v24, v13
	v_pack_b32_f16 v13, v41, v16
	v_pack_b32_f16 v12, v21, v12
	ds_write_b32 v24, v13 offset:1560
	ds_write_b32 v24, v12 offset:3120
	s_and_saveexec_b64 s[2:3], vcc
	s_cbranch_execz .LBB0_25
; %bb.24:
	v_subrev_u32_e32 v12, 39, v5
	v_cndmask_b32_e32 v12, v12, v10, vcc
	v_lshlrev_b32_e32 v12, 1, v12
	v_mov_b32_e32 v13, 0
	v_lshlrev_b64 v[12:13], 2, v[12:13]
	v_mov_b32_e32 v14, s13
	v_add_co_u32_e32 v12, vcc, s12, v12
	v_addc_co_u32_e32 v13, vcc, v14, v13, vcc
	global_load_dwordx2 v[12:13], v[12:13], off offset:1552
	s_waitcnt vmcnt(0)
	v_mul_f16_sdwa v14, v8, v13 dst_sel:DWORD dst_unused:UNUSED_PAD src0_sel:DWORD src1_sel:WORD_1
	v_mul_f16_sdwa v15, v27, v12 dst_sel:DWORD dst_unused:UNUSED_PAD src0_sel:DWORD src1_sel:WORD_1
	v_mul_f16_sdwa v16, v29, v12 dst_sel:DWORD dst_unused:UNUSED_PAD src0_sel:DWORD src1_sel:WORD_1
	v_mul_f16_sdwa v17, v28, v13 dst_sel:DWORD dst_unused:UNUSED_PAD src0_sel:DWORD src1_sel:WORD_1
	v_fma_f16 v14, v28, v13, v14
	v_fma_f16 v15, v29, v12, v15
	v_fma_f16 v12, v27, v12, -v16
	v_fma_f16 v8, v8, v13, -v17
	v_add_f16_e32 v13, v31, v15
	v_add_f16_e32 v16, v30, v12
	v_sub_f16_e32 v17, v12, v8
	v_add_f16_e32 v18, v15, v14
	v_add_f16_e32 v12, v12, v8
	v_sub_f16_e32 v15, v15, v14
	v_add_f16_e32 v13, v13, v14
	v_add_f16_e32 v8, v16, v8
	v_fma_f16 v14, v18, -0.5, v31
	v_fma_f16 v12, v12, -0.5, v30
	v_fma_f16 v16, v17, s6, v14
	v_fma_f16 v14, v17, s7, v14
	;; [unrolled: 1-line block ×4, first 2 shown]
	v_pack_b32_f16 v8, v8, v13
	ds_write_b32 v0, v8 offset:1404
	v_pack_b32_f16 v8, v12, v14
	v_pack_b32_f16 v12, v17, v16
	ds_write_b32 v0, v8 offset:2964
	ds_write_b32 v0, v12 offset:4524
.LBB0_25:
	s_or_b64 exec, exec, s[2:3]
	s_waitcnt lgkmcnt(0)
	s_barrier
	ds_read_b32 v8, v0
	s_add_u32 s6, s12, 0x1240
	s_addc_u32 s7, s13, 0
	v_sub_u32_e32 v13, 0, v6
	v_cmp_ne_u32_e32 vcc, 0, v5
                                        ; implicit-def: $vgpr15
                                        ; implicit-def: $vgpr6
                                        ; implicit-def: $vgpr14
	s_and_saveexec_b64 s[2:3], vcc
	s_xor_b64 s[2:3], exec, s[2:3]
	s_cbranch_execz .LBB0_27
; %bb.26:
	v_mov_b32_e32 v6, 0
	v_lshlrev_b64 v[14:15], 2, v[5:6]
	v_mov_b32_e32 v6, s7
	v_add_co_u32_e32 v14, vcc, s6, v14
	v_addc_co_u32_e32 v15, vcc, v6, v15, vcc
	global_load_dword v6, v[14:15], off
	ds_read_b32 v12, v13 offset:4680
	s_mov_b32 s8, 0xffff
	s_waitcnt lgkmcnt(0)
	v_pk_add_f16 v14, v8, v12 neg_lo:[0,1] neg_hi:[0,1]
	v_pk_add_f16 v8, v12, v8
	v_bfi_b32 v12, s8, v14, v8
	v_pk_mul_f16 v12, v12, 0.5 op_sel_hi:[1,0]
	v_bfi_b32 v8, s8, v8, v14
	v_pk_mul_f16 v14, v8, 0.5 op_sel_hi:[1,0]
	s_waitcnt vmcnt(0)
	v_pk_mul_f16 v15, v6, v12 op_sel:[1,0]
	v_pk_mul_f16 v12, v6, v12 op_sel_hi:[0,1]
	v_pk_fma_f16 v6, v8, 0.5, v15 op_sel_hi:[1,0,1]
	v_sub_f16_e32 v8, v14, v15
	v_sub_f16_sdwa v14, v15, v14 dst_sel:DWORD dst_unused:UNUSED_PAD src0_sel:WORD_1 src1_sel:WORD_1
	v_pk_add_f16 v15, v6, v12 op_sel:[0,1] op_sel_hi:[1,0]
	v_pk_add_f16 v16, v6, v12 op_sel:[0,1] op_sel_hi:[1,0] neg_lo:[0,1] neg_hi:[0,1]
	v_sub_f16_sdwa v6, v8, v12 dst_sel:DWORD dst_unused:UNUSED_PAD src0_sel:DWORD src1_sel:WORD_1
	v_bfi_b32 v15, s8, v15, v16
	v_sub_f16_e32 v14, v14, v12
                                        ; implicit-def: $vgpr8
.LBB0_27:
	s_andn2_saveexec_b64 s[2:3], s[2:3]
	s_cbranch_execz .LBB0_29
; %bb.28:
	v_mov_b32_e32 v14, 0
	ds_read_u16 v12, v14 offset:2342
	s_waitcnt lgkmcnt(1)
	v_alignbit_b32 v15, s0, v8, 16
	v_sub_f16_sdwa v6, v8, v8 dst_sel:DWORD dst_unused:UNUSED_PAD src0_sel:DWORD src1_sel:WORD_1
	v_pk_add_f16 v8, v15, v8
	v_pack_b32_f16 v15, v8, 0
	s_waitcnt lgkmcnt(0)
	v_xor_b32_e32 v12, 0x8000, v12
	ds_write_b16 v14, v12 offset:2342
.LBB0_29:
	s_or_b64 exec, exec, s[2:3]
	s_waitcnt lgkmcnt(0)
	v_mov_b32_e32 v8, 0
	v_lshlrev_b64 v[16:17], 2, v[7:8]
	v_mov_b32_e32 v7, s7
	v_add_co_u32_e32 v16, vcc, s6, v16
	v_addc_co_u32_e32 v17, vcc, v7, v17, vcc
	global_load_dword v16, v[16:17], off
	v_mov_b32_e32 v12, v8
	v_lshlrev_b64 v[11:12], 2, v[11:12]
	s_mov_b32 s2, 0xffff
	v_add_co_u32_e32 v11, vcc, s6, v11
	v_addc_co_u32_e32 v12, vcc, v7, v12, vcc
	global_load_dword v12, v[11:12], off
	v_mov_b32_e32 v11, v8
	v_lshlrev_b64 v[10:11], 2, v[10:11]
	v_add_co_u32_e32 v10, vcc, s6, v10
	v_addc_co_u32_e32 v11, vcc, v7, v11, vcc
	global_load_dword v11, v[10:11], off
	v_mov_b32_e32 v10, v8
	ds_write_b16 v13, v14 offset:4682
	ds_write_b32 v0, v15
	ds_write_b16 v13, v6 offset:4680
	v_lshlrev_b64 v[6:7], 2, v[9:10]
	v_mov_b32_e32 v0, s7
	v_add_co_u32_e32 v6, vcc, s6, v6
	v_addc_co_u32_e32 v7, vcc, v0, v7, vcc
	ds_read_b32 v14, v25
	ds_read_b32 v15, v13 offset:4212
	global_load_dword v0, v[6:7], off
	s_waitcnt lgkmcnt(0)
	v_pk_add_f16 v6, v14, v15 neg_lo:[0,1] neg_hi:[0,1]
	v_pk_add_f16 v7, v14, v15
	v_bfi_b32 v9, s2, v6, v7
	v_bfi_b32 v6, s2, v7, v6
	v_pk_mul_f16 v7, v9, 0.5 op_sel_hi:[1,0]
	v_pk_mul_f16 v6, v6, 0.5 op_sel_hi:[1,0]
	s_waitcnt vmcnt(3)
	v_pk_fma_f16 v9, v16, v7, v6 op_sel:[1,0,0]
	v_pk_mul_f16 v10, v16, v7 op_sel_hi:[0,1]
	v_pk_fma_f16 v14, v16, v7, v6 op_sel:[1,0,0] neg_lo:[1,0,0] neg_hi:[1,0,0]
	v_pk_fma_f16 v6, v16, v7, v6 op_sel:[1,0,0] neg_lo:[0,0,1] neg_hi:[0,0,1]
	v_pk_add_f16 v7, v9, v10 op_sel:[0,1] op_sel_hi:[1,0]
	v_pk_add_f16 v9, v9, v10 op_sel:[0,1] op_sel_hi:[1,0] neg_lo:[0,1] neg_hi:[0,1]
	v_pk_add_f16 v14, v14, v10 op_sel:[0,1] op_sel_hi:[1,0] neg_lo:[0,1] neg_hi:[0,1]
	v_pk_add_f16 v6, v6, v10 op_sel:[0,1] op_sel_hi:[1,0] neg_lo:[0,1] neg_hi:[0,1]
	v_bfi_b32 v7, s2, v7, v9
	v_bfi_b32 v6, s2, v14, v6
	ds_write_b32 v25, v7
	ds_write_b32 v13, v6 offset:4212
	ds_read_b32 v6, v24
	ds_read_b32 v7, v13 offset:3744
	s_waitcnt lgkmcnt(0)
	v_pk_add_f16 v9, v6, v7 neg_lo:[0,1] neg_hi:[0,1]
	v_pk_add_f16 v6, v6, v7
	v_bfi_b32 v7, s2, v9, v6
	v_bfi_b32 v6, s2, v6, v9
	v_pk_mul_f16 v7, v7, 0.5 op_sel_hi:[1,0]
	v_pk_mul_f16 v6, v6, 0.5 op_sel_hi:[1,0]
	s_waitcnt vmcnt(2)
	v_pk_fma_f16 v9, v12, v7, v6 op_sel:[1,0,0]
	v_pk_mul_f16 v10, v12, v7 op_sel_hi:[0,1]
	v_pk_fma_f16 v14, v12, v7, v6 op_sel:[1,0,0] neg_lo:[1,0,0] neg_hi:[1,0,0]
	v_pk_fma_f16 v6, v12, v7, v6 op_sel:[1,0,0] neg_lo:[0,0,1] neg_hi:[0,0,1]
	v_pk_add_f16 v7, v9, v10 op_sel:[0,1] op_sel_hi:[1,0]
	v_pk_add_f16 v9, v9, v10 op_sel:[0,1] op_sel_hi:[1,0] neg_lo:[0,1] neg_hi:[0,1]
	v_pk_add_f16 v12, v14, v10 op_sel:[0,1] op_sel_hi:[1,0] neg_lo:[0,1] neg_hi:[0,1]
	v_pk_add_f16 v6, v6, v10 op_sel:[0,1] op_sel_hi:[1,0] neg_lo:[0,1] neg_hi:[0,1]
	v_bfi_b32 v7, s2, v7, v9
	v_bfi_b32 v6, s2, v12, v6
	ds_write_b32 v24, v7
	ds_write_b32 v13, v6 offset:3744
	ds_read_b32 v6, v23
	ds_read_b32 v7, v13 offset:3276
	;; [unrolled: 22-line block ×3, first 2 shown]
	s_waitcnt lgkmcnt(0)
	v_pk_add_f16 v9, v6, v7 neg_lo:[0,1] neg_hi:[0,1]
	v_pk_add_f16 v6, v6, v7
	v_bfi_b32 v7, s2, v9, v6
	v_bfi_b32 v6, s2, v6, v9
	v_pk_mul_f16 v7, v7, 0.5 op_sel_hi:[1,0]
	v_pk_mul_f16 v6, v6, 0.5 op_sel_hi:[1,0]
	s_waitcnt vmcnt(0)
	v_pk_fma_f16 v9, v0, v7, v6 op_sel:[1,0,0]
	v_pk_mul_f16 v10, v0, v7 op_sel_hi:[0,1]
	v_pk_fma_f16 v11, v0, v7, v6 op_sel:[1,0,0] neg_lo:[1,0,0] neg_hi:[1,0,0]
	v_pk_fma_f16 v0, v0, v7, v6 op_sel:[1,0,0] neg_lo:[0,0,1] neg_hi:[0,0,1]
	v_pk_add_f16 v6, v9, v10 op_sel:[0,1] op_sel_hi:[1,0]
	v_pk_add_f16 v7, v9, v10 op_sel:[0,1] op_sel_hi:[1,0] neg_lo:[0,1] neg_hi:[0,1]
	v_pk_add_f16 v9, v11, v10 op_sel:[0,1] op_sel_hi:[1,0] neg_lo:[0,1] neg_hi:[0,1]
	;; [unrolled: 1-line block ×3, first 2 shown]
	v_bfi_b32 v6, s2, v6, v7
	v_bfi_b32 v0, s2, v9, v0
	ds_write_b32 v26, v6
	ds_write_b32 v13, v0 offset:2808
	s_waitcnt lgkmcnt(0)
	s_barrier
	s_and_saveexec_b64 s[2:3], s[0:1]
	s_cbranch_execz .LBB0_32
; %bb.30:
	v_mul_lo_u32 v0, s5, v3
	v_mul_lo_u32 v6, s4, v4
	v_mad_u64_u32 v[3:4], s[0:1], s4, v3, 0
	v_lshlrev_b64 v[1:2], 2, v[1:2]
	v_lshl_add_u32 v11, v5, 2, 0
	v_add3_u32 v4, v4, v6, v0
	v_lshlrev_b64 v[3:4], 2, v[3:4]
	v_mov_b32_e32 v0, s11
	v_add_co_u32_e32 v3, vcc, s10, v3
	v_addc_co_u32_e32 v0, vcc, v0, v4, vcc
	v_mov_b32_e32 v6, v8
	ds_read2_b32 v[9:10], v11 offset1:117
	v_add_co_u32_e32 v1, vcc, v3, v1
	v_addc_co_u32_e32 v0, vcc, v0, v2, vcc
	v_lshlrev_b64 v[2:3], 2, v[5:6]
	v_add_u32_e32 v7, 0x75, v5
	v_add_co_u32_e32 v2, vcc, v1, v2
	v_addc_co_u32_e32 v3, vcc, v0, v3, vcc
	s_waitcnt lgkmcnt(0)
	global_store_dword v[2:3], v9, off
	v_lshlrev_b64 v[2:3], 2, v[7:8]
	v_add_u32_e32 v7, 0xea, v5
	v_add_co_u32_e32 v2, vcc, v1, v2
	v_addc_co_u32_e32 v3, vcc, v0, v3, vcc
	global_store_dword v[2:3], v10, off
	v_add_u32_e32 v2, 0x200, v11
	ds_read2_b32 v[2:3], v2 offset0:106 offset1:223
	v_lshlrev_b64 v[6:7], 2, v[7:8]
	s_movk_i32 s0, 0x74
	v_add_co_u32_e32 v6, vcc, v1, v6
	v_addc_co_u32_e32 v7, vcc, v0, v7, vcc
	s_waitcnt lgkmcnt(0)
	global_store_dword v[6:7], v2, off
	v_add_u32_e32 v7, 0x15f, v5
	v_lshlrev_b64 v[6:7], 2, v[7:8]
	v_add_u32_e32 v2, 0x600, v11
	v_add_co_u32_e32 v6, vcc, v1, v6
	v_addc_co_u32_e32 v7, vcc, v0, v7, vcc
	global_store_dword v[6:7], v3, off
	v_add_u32_e32 v7, 0x1d4, v5
	ds_read2_b32 v[2:3], v2 offset0:84 offset1:201
	v_lshlrev_b64 v[6:7], 2, v[7:8]
	v_add_co_u32_e32 v6, vcc, v1, v6
	v_addc_co_u32_e32 v7, vcc, v0, v7, vcc
	s_waitcnt lgkmcnt(0)
	global_store_dword v[6:7], v2, off
	v_add_u32_e32 v7, 0x249, v5
	v_lshlrev_b64 v[6:7], 2, v[7:8]
	v_add_u32_e32 v2, 0xa00, v11
	v_add_co_u32_e32 v6, vcc, v1, v6
	v_addc_co_u32_e32 v7, vcc, v0, v7, vcc
	global_store_dword v[6:7], v3, off
	v_add_u32_e32 v7, 0x2be, v5
	ds_read2_b32 v[2:3], v2 offset0:62 offset1:179
	v_lshlrev_b64 v[6:7], 2, v[7:8]
	;; [unrolled: 13-line block ×3, first 2 shown]
	v_add_co_u32_e32 v6, vcc, v1, v6
	v_addc_co_u32_e32 v7, vcc, v0, v7, vcc
	s_waitcnt lgkmcnt(0)
	global_store_dword v[6:7], v2, off
	v_add_u32_e32 v7, 0x41d, v5
	v_lshlrev_b64 v[6:7], 2, v[7:8]
	v_add_co_u32_e32 v6, vcc, v1, v6
	v_addc_co_u32_e32 v7, vcc, v0, v7, vcc
	v_cmp_eq_u32_e32 vcc, s0, v5
	global_store_dword v[6:7], v3, off
	s_and_b64 exec, exec, vcc
	s_cbranch_execz .LBB0_32
; %bb.31:
	v_mov_b32_e32 v2, 0
	ds_read_b32 v3, v2 offset:4680
	v_add_co_u32_e32 v1, vcc, 0x1000, v1
	v_addc_co_u32_e32 v2, vcc, 0, v0, vcc
	s_waitcnt lgkmcnt(0)
	global_store_dword v[1:2], v3, off offset:584
.LBB0_32:
	s_endpgm
	.section	.rodata,"a",@progbits
	.p2align	6, 0x0
	.amdhsa_kernel fft_rtc_fwd_len1170_factors_2_13_3_5_3_wgs_117_tpt_117_half_op_CI_CI_unitstride_sbrr_R2C_dirReg
		.amdhsa_group_segment_fixed_size 0
		.amdhsa_private_segment_fixed_size 0
		.amdhsa_kernarg_size 104
		.amdhsa_user_sgpr_count 6
		.amdhsa_user_sgpr_private_segment_buffer 1
		.amdhsa_user_sgpr_dispatch_ptr 0
		.amdhsa_user_sgpr_queue_ptr 0
		.amdhsa_user_sgpr_kernarg_segment_ptr 1
		.amdhsa_user_sgpr_dispatch_id 0
		.amdhsa_user_sgpr_flat_scratch_init 0
		.amdhsa_user_sgpr_private_segment_size 0
		.amdhsa_uses_dynamic_stack 0
		.amdhsa_system_sgpr_private_segment_wavefront_offset 0
		.amdhsa_system_sgpr_workgroup_id_x 1
		.amdhsa_system_sgpr_workgroup_id_y 0
		.amdhsa_system_sgpr_workgroup_id_z 0
		.amdhsa_system_sgpr_workgroup_info 0
		.amdhsa_system_vgpr_workitem_id 0
		.amdhsa_next_free_vgpr 132
		.amdhsa_next_free_sgpr 28
		.amdhsa_reserve_vcc 1
		.amdhsa_reserve_flat_scratch 0
		.amdhsa_float_round_mode_32 0
		.amdhsa_float_round_mode_16_64 0
		.amdhsa_float_denorm_mode_32 3
		.amdhsa_float_denorm_mode_16_64 3
		.amdhsa_dx10_clamp 1
		.amdhsa_ieee_mode 1
		.amdhsa_fp16_overflow 0
		.amdhsa_exception_fp_ieee_invalid_op 0
		.amdhsa_exception_fp_denorm_src 0
		.amdhsa_exception_fp_ieee_div_zero 0
		.amdhsa_exception_fp_ieee_overflow 0
		.amdhsa_exception_fp_ieee_underflow 0
		.amdhsa_exception_fp_ieee_inexact 0
		.amdhsa_exception_int_div_zero 0
	.end_amdhsa_kernel
	.text
.Lfunc_end0:
	.size	fft_rtc_fwd_len1170_factors_2_13_3_5_3_wgs_117_tpt_117_half_op_CI_CI_unitstride_sbrr_R2C_dirReg, .Lfunc_end0-fft_rtc_fwd_len1170_factors_2_13_3_5_3_wgs_117_tpt_117_half_op_CI_CI_unitstride_sbrr_R2C_dirReg
                                        ; -- End function
	.section	.AMDGPU.csdata,"",@progbits
; Kernel info:
; codeLenInByte = 10972
; NumSgprs: 32
; NumVgprs: 132
; ScratchSize: 0
; MemoryBound: 0
; FloatMode: 240
; IeeeMode: 1
; LDSByteSize: 0 bytes/workgroup (compile time only)
; SGPRBlocks: 3
; VGPRBlocks: 32
; NumSGPRsForWavesPerEU: 32
; NumVGPRsForWavesPerEU: 132
; Occupancy: 1
; WaveLimiterHint : 1
; COMPUTE_PGM_RSRC2:SCRATCH_EN: 0
; COMPUTE_PGM_RSRC2:USER_SGPR: 6
; COMPUTE_PGM_RSRC2:TRAP_HANDLER: 0
; COMPUTE_PGM_RSRC2:TGID_X_EN: 1
; COMPUTE_PGM_RSRC2:TGID_Y_EN: 0
; COMPUTE_PGM_RSRC2:TGID_Z_EN: 0
; COMPUTE_PGM_RSRC2:TIDIG_COMP_CNT: 0
	.type	__hip_cuid_69288bbb1e3c62bf,@object ; @__hip_cuid_69288bbb1e3c62bf
	.section	.bss,"aw",@nobits
	.globl	__hip_cuid_69288bbb1e3c62bf
__hip_cuid_69288bbb1e3c62bf:
	.byte	0                               ; 0x0
	.size	__hip_cuid_69288bbb1e3c62bf, 1

	.ident	"AMD clang version 19.0.0git (https://github.com/RadeonOpenCompute/llvm-project roc-6.4.0 25133 c7fe45cf4b819c5991fe208aaa96edf142730f1d)"
	.section	".note.GNU-stack","",@progbits
	.addrsig
	.addrsig_sym __hip_cuid_69288bbb1e3c62bf
	.amdgpu_metadata
---
amdhsa.kernels:
  - .args:
      - .actual_access:  read_only
        .address_space:  global
        .offset:         0
        .size:           8
        .value_kind:     global_buffer
      - .offset:         8
        .size:           8
        .value_kind:     by_value
      - .actual_access:  read_only
        .address_space:  global
        .offset:         16
        .size:           8
        .value_kind:     global_buffer
      - .actual_access:  read_only
        .address_space:  global
        .offset:         24
        .size:           8
        .value_kind:     global_buffer
      - .actual_access:  read_only
        .address_space:  global
        .offset:         32
        .size:           8
        .value_kind:     global_buffer
      - .offset:         40
        .size:           8
        .value_kind:     by_value
      - .actual_access:  read_only
        .address_space:  global
        .offset:         48
        .size:           8
        .value_kind:     global_buffer
      - .actual_access:  read_only
        .address_space:  global
        .offset:         56
        .size:           8
        .value_kind:     global_buffer
      - .offset:         64
        .size:           4
        .value_kind:     by_value
      - .actual_access:  read_only
        .address_space:  global
        .offset:         72
        .size:           8
        .value_kind:     global_buffer
      - .actual_access:  read_only
        .address_space:  global
        .offset:         80
        .size:           8
        .value_kind:     global_buffer
      - .actual_access:  read_only
        .address_space:  global
        .offset:         88
        .size:           8
        .value_kind:     global_buffer
      - .actual_access:  write_only
        .address_space:  global
        .offset:         96
        .size:           8
        .value_kind:     global_buffer
    .group_segment_fixed_size: 0
    .kernarg_segment_align: 8
    .kernarg_segment_size: 104
    .language:       OpenCL C
    .language_version:
      - 2
      - 0
    .max_flat_workgroup_size: 117
    .name:           fft_rtc_fwd_len1170_factors_2_13_3_5_3_wgs_117_tpt_117_half_op_CI_CI_unitstride_sbrr_R2C_dirReg
    .private_segment_fixed_size: 0
    .sgpr_count:     32
    .sgpr_spill_count: 0
    .symbol:         fft_rtc_fwd_len1170_factors_2_13_3_5_3_wgs_117_tpt_117_half_op_CI_CI_unitstride_sbrr_R2C_dirReg.kd
    .uniform_work_group_size: 1
    .uses_dynamic_stack: false
    .vgpr_count:     132
    .vgpr_spill_count: 0
    .wavefront_size: 64
amdhsa.target:   amdgcn-amd-amdhsa--gfx906
amdhsa.version:
  - 1
  - 2
...

	.end_amdgpu_metadata
